;; amdgpu-corpus repo=ROCm/rocFFT kind=compiled arch=gfx906 opt=O3
	.text
	.amdgcn_target "amdgcn-amd-amdhsa--gfx906"
	.amdhsa_code_object_version 6
	.protected	bluestein_single_fwd_len1360_dim1_sp_op_CI_CI ; -- Begin function bluestein_single_fwd_len1360_dim1_sp_op_CI_CI
	.globl	bluestein_single_fwd_len1360_dim1_sp_op_CI_CI
	.p2align	8
	.type	bluestein_single_fwd_len1360_dim1_sp_op_CI_CI,@function
bluestein_single_fwd_len1360_dim1_sp_op_CI_CI: ; @bluestein_single_fwd_len1360_dim1_sp_op_CI_CI
; %bb.0:
	s_mov_b64 s[22:23], s[2:3]
	v_mul_u32_u24_e32 v1, 0x304, v0
	s_mov_b64 s[20:21], s[0:1]
	s_load_dwordx4 s[0:3], s[4:5], 0x28
	v_lshrrev_b32_e32 v1, 16, v1
	s_add_u32 s20, s20, s7
	v_mad_u64_u32 v[92:93], s[6:7], s6, 3, v[1:2]
	v_mov_b32_e32 v93, 0
	s_addc_u32 s21, s21, 0
	s_waitcnt lgkmcnt(0)
	v_cmp_gt_u64_e32 vcc, s[0:1], v[92:93]
	s_and_saveexec_b64 s[0:1], vcc
	s_cbranch_execz .LBB0_23
; %bb.1:
	s_mov_b32 s0, 0xaaaaaaab
	v_mul_hi_u32 v2, v92, s0
	v_mul_lo_u16_e32 v1, 0x55, v1
	s_load_dwordx2 s[12:13], s[4:5], 0x0
	s_load_dwordx2 s[14:15], s[4:5], 0x38
	v_sub_u16_e32 v113, v0, v1
	v_lshrrev_b32_e32 v0, 1, v2
	v_lshl_add_u32 v0, v0, 1, v0
	v_sub_u32_e32 v0, v92, v0
	v_mul_u32_u24_e32 v72, 0x550, v0
	s_movk_i32 s0, 0x50
	v_cmp_gt_u16_e32 vcc, s0, v113
	v_lshlrev_b32_e32 v114, 3, v113
	v_lshlrev_b32_e32 v115, 3, v72
	s_and_saveexec_b64 s[6:7], vcc
	s_cbranch_execz .LBB0_3
; %bb.2:
	s_load_dwordx2 s[0:1], s[4:5], 0x18
	s_waitcnt lgkmcnt(0)
	v_mov_b32_e32 v18, s13
	v_or_b32_e32 v37, 0x280, v113
	v_mov_b32_e32 v38, 0x500
	v_or_b32_e32 v76, 0x500, v113
	s_load_dwordx4 s[8:11], s[0:1], 0x0
	s_waitcnt lgkmcnt(0)
	v_mad_u64_u32 v[0:1], s[0:1], s10, v92, 0
	v_mad_u64_u32 v[2:3], s[0:1], s8, v113, 0
	s_mul_i32 s10, s8, 0x280
	v_mad_u64_u32 v[4:5], s[0:1], s11, v92, v[1:2]
	v_mad_u64_u32 v[5:6], s[0:1], s9, v113, v[3:4]
	v_mov_b32_e32 v1, v4
	v_lshlrev_b64 v[0:1], 3, v[0:1]
	v_mov_b32_e32 v3, v5
	v_mov_b32_e32 v6, s3
	v_lshlrev_b64 v[2:3], 3, v[2:3]
	v_add_co_u32_e64 v71, s[0:1], s2, v0
	v_addc_co_u32_e64 v75, s[0:1], v6, v1, s[0:1]
	v_add_co_u32_e64 v0, s[0:1], v71, v2
	v_addc_co_u32_e64 v1, s[0:1], v75, v3, s[0:1]
	v_add_co_u32_e64 v58, s[0:1], s12, v114
	s_movk_i32 s2, 0x1000
	v_addc_co_u32_e64 v59, s[0:1], 0, v18, s[0:1]
	v_add_co_u32_e64 v18, s[0:1], s2, v58
	v_addc_co_u32_e64 v19, s[0:1], 0, v59, s[0:1]
	v_mad_u64_u32 v[20:21], s[0:1], s8, v37, 0
	s_mul_i32 s2, s9, 0x280
	s_mul_hi_u32 s3, s8, 0x280
	v_mad_u64_u32 v[21:22], s[0:1], s9, v37, v[21:22]
	s_add_i32 s2, s3, s2
	global_load_dwordx2 v[2:3], v[0:1], off
	global_load_dwordx2 v[4:5], v114, s[12:13]
	v_lshlrev_b64 v[20:21], 3, v[20:21]
	v_mov_b32_e32 v23, s2
	v_add_co_u32_e64 v20, s[0:1], v71, v20
	v_addc_co_u32_e64 v21, s[0:1], v75, v21, s[0:1]
	v_add_co_u32_e64 v0, s[0:1], s10, v0
	v_addc_co_u32_e64 v1, s[0:1], v1, v23, s[0:1]
	v_mov_b32_e32 v24, s2
	v_add_co_u32_e64 v22, s[0:1], s10, v0
	v_addc_co_u32_e64 v23, s[0:1], v1, v24, s[0:1]
	v_mov_b32_e32 v25, s2
	v_add_co_u32_e64 v24, s[0:1], s10, v22
	v_addc_co_u32_e64 v25, s[0:1], v23, v25, s[0:1]
	global_load_dwordx2 v[6:7], v114, s[12:13] offset:640
	global_load_dwordx2 v[8:9], v114, s[12:13] offset:1280
	;; [unrolled: 1-line block ×6, first 2 shown]
	v_mov_b32_e32 v32, s2
	global_load_dwordx2 v[20:21], v[20:21], off
	s_nop 0
	global_load_dwordx2 v[26:27], v[0:1], off
	global_load_dwordx2 v[28:29], v[22:23], off
	;; [unrolled: 1-line block ×3, first 2 shown]
	v_add_co_u32_e64 v0, s[0:1], s10, v24
	v_addc_co_u32_e64 v1, s[0:1], v25, v32, s[0:1]
	v_mov_b32_e32 v33, s2
	global_load_dwordx2 v[22:23], v[0:1], off
	v_add_co_u32_e64 v0, s[0:1], s10, v0
	v_addc_co_u32_e64 v1, s[0:1], v1, v33, s[0:1]
	v_mov_b32_e32 v34, s2
	global_load_dwordx2 v[24:25], v[0:1], off
	;; [unrolled: 4-line block ×3, first 2 shown]
	v_add_co_u32_e64 v0, s[0:1], s10, v0
	v_addc_co_u32_e64 v1, s[0:1], v1, v35, s[0:1]
	v_lshlrev_b32_e32 v37, 3, v37
	global_load_dwordx2 v[34:35], v[0:1], off
	v_mad_u64_u32 v[0:1], s[0:1], s8, v38, v[0:1]
	global_load_dwordx2 v[38:39], v37, s[12:13]
	s_mul_i32 s0, s9, 0x500
	v_add_u32_e32 v1, s0, v1
	global_load_dwordx2 v[40:41], v[0:1], off
	v_mov_b32_e32 v37, s2
	v_add_co_u32_e64 v0, s[0:1], s10, v0
	v_addc_co_u32_e64 v1, s[0:1], v1, v37, s[0:1]
	global_load_dwordx2 v[42:43], v[0:1], off
	v_add_co_u32_e64 v0, s[0:1], s10, v0
	v_addc_co_u32_e64 v1, s[0:1], v1, v37, s[0:1]
	global_load_dwordx2 v[44:45], v[0:1], off
	global_load_dwordx2 v[46:47], v[18:19], off offset:384
	global_load_dwordx2 v[48:49], v[18:19], off offset:1664
	;; [unrolled: 1-line block ×4, first 2 shown]
	v_add_co_u32_e64 v0, s[0:1], s10, v0
	v_addc_co_u32_e64 v1, s[0:1], v1, v37, s[0:1]
	global_load_dwordx2 v[54:55], v[0:1], off
	global_load_dwordx2 v[56:57], v[18:19], off offset:3584
	v_mov_b32_e32 v18, s2
	v_add_co_u32_e64 v0, s[0:1], s10, v0
	v_addc_co_u32_e64 v1, s[0:1], v1, v18, s[0:1]
	s_movk_i32 s0, 0x2000
	v_add_co_u32_e64 v58, s[0:1], s0, v58
	v_addc_co_u32_e64 v59, s[0:1], 0, v59, s[0:1]
	global_load_dwordx2 v[18:19], v[0:1], off
	v_add_co_u32_e64 v0, s[0:1], s10, v0
	v_addc_co_u32_e64 v1, s[0:1], v1, v37, s[0:1]
	v_mad_u64_u32 v[62:63], s[0:1], s8, v76, 0
	global_load_dwordx2 v[60:61], v[0:1], off
	v_add_co_u32_e64 v0, s[0:1], s10, v0
	v_addc_co_u32_e64 v1, s[0:1], v1, v37, s[0:1]
	v_mov_b32_e32 v37, v63
	global_load_dwordx2 v[64:65], v[58:59], off offset:128
	s_waitcnt vmcnt(27)
	v_mul_f32_e32 v36, v3, v5
	v_fmac_f32_e32 v36, v2, v4
	v_mul_f32_e32 v2, v2, v5
	s_waitcnt vmcnt(18)
	v_mul_f32_e32 v5, v28, v9
	v_fma_f32 v5, v29, v8, -v5
	s_waitcnt vmcnt(12)
	v_mad_u64_u32 v[66:67], s[0:1], s9, v76, v[37:38]
	global_load_dwordx2 v[67:68], v[0:1], off
	global_load_dwordx2 v[69:70], v[58:59], off offset:768
	global_load_dwordx2 v[73:74], v[58:59], off offset:1408
	v_lshlrev_b32_e32 v37, 3, v76
	v_mov_b32_e32 v63, v66
	v_lshlrev_b64 v[0:1], 3, v[62:63]
	global_load_dwordx2 v[58:59], v37, s[12:13]
	v_add_co_u32_e64 v0, s[0:1], v71, v0
	v_addc_co_u32_e64 v1, s[0:1], v75, v1, s[0:1]
	global_load_dwordx2 v[0:1], v[0:1], off
	v_lshl_add_u32 v62, v113, 3, v115
	v_fma_f32 v37, v3, v4, -v2
	v_mul_f32_e32 v2, v27, v7
	v_mul_f32_e32 v3, v26, v7
	;; [unrolled: 1-line block ×3, first 2 shown]
	ds_write_b64 v62, v[36:37]
	v_fmac_f32_e32 v2, v26, v6
	v_add_u32_e32 v36, v115, v114
	v_fma_f32 v3, v27, v6, -v3
	v_fmac_f32_e32 v4, v28, v8
	ds_write2_b64 v36, v[2:3], v[4:5] offset0:80 offset1:160
	v_mul_f32_e32 v2, v31, v11
	v_mul_f32_e32 v3, v30, v11
	;; [unrolled: 1-line block ×4, first 2 shown]
	v_fmac_f32_e32 v2, v30, v10
	v_fma_f32 v3, v31, v10, -v3
	v_fmac_f32_e32 v4, v22, v12
	v_fma_f32 v5, v23, v12, -v5
	v_add_u32_e32 v6, 0x400, v36
	ds_write2_b64 v6, v[2:3], v[4:5] offset0:112 offset1:192
	v_mul_f32_e32 v2, v25, v15
	v_mul_f32_e32 v3, v24, v15
	;; [unrolled: 1-line block ×4, first 2 shown]
	v_fmac_f32_e32 v2, v24, v14
	v_fma_f32 v3, v25, v14, -v3
	v_fmac_f32_e32 v4, v32, v16
	v_fma_f32 v5, v33, v16, -v5
	v_add_u32_e32 v6, 0x800, v36
	ds_write2_b64 v6, v[2:3], v[4:5] offset0:144 offset1:224
	s_waitcnt vmcnt(13)
	v_mul_f32_e32 v2, v35, v47
	v_mul_f32_e32 v3, v34, v47
	;; [unrolled: 1-line block ×4, first 2 shown]
	v_fmac_f32_e32 v2, v34, v46
	v_fma_f32 v3, v35, v46, -v3
	v_fmac_f32_e32 v4, v20, v38
	v_fma_f32 v5, v21, v38, -v5
	v_add_u32_e32 v6, 0x1000, v36
	ds_write2_b64 v6, v[2:3], v[4:5] offset0:48 offset1:128
	s_waitcnt vmcnt(12)
	v_mul_f32_e32 v2, v41, v49
	v_mul_f32_e32 v3, v40, v49
	s_waitcnt vmcnt(11)
	v_mul_f32_e32 v4, v43, v51
	v_mul_f32_e32 v5, v42, v51
	v_fmac_f32_e32 v2, v40, v48
	v_fma_f32 v3, v41, v48, -v3
	v_fmac_f32_e32 v4, v42, v50
	v_fma_f32 v5, v43, v50, -v5
	v_add_u32_e32 v6, 0x1400, v36
	ds_write2_b64 v6, v[2:3], v[4:5] offset0:80 offset1:160
	s_waitcnt vmcnt(10)
	v_mul_f32_e32 v2, v45, v53
	v_mul_f32_e32 v3, v44, v53
	s_waitcnt vmcnt(8)
	v_mul_f32_e32 v4, v55, v57
	v_mul_f32_e32 v5, v54, v57
	v_fmac_f32_e32 v2, v44, v52
	v_fma_f32 v3, v45, v52, -v3
	v_fmac_f32_e32 v4, v54, v56
	v_fma_f32 v5, v55, v56, -v5
	v_add_u32_e32 v6, 0x1800, v36
	ds_write2_b64 v6, v[2:3], v[4:5] offset0:112 offset1:192
	s_waitcnt vmcnt(5)
	v_mul_f32_e32 v2, v19, v65
	v_mul_f32_e32 v3, v18, v65
	v_fmac_f32_e32 v2, v18, v64
	v_fma_f32 v3, v19, v64, -v3
	v_add_u32_e32 v6, 0x2000, v36
	s_waitcnt vmcnt(3)
	v_mul_f32_e32 v4, v61, v70
	v_mul_f32_e32 v5, v60, v70
	v_fmac_f32_e32 v4, v60, v69
	v_fma_f32 v5, v61, v69, -v5
	ds_write2_b64 v6, v[2:3], v[4:5] offset0:16 offset1:96
	s_waitcnt vmcnt(2)
	v_mul_f32_e32 v2, v68, v74
	v_mul_f32_e32 v3, v67, v74
	v_fmac_f32_e32 v2, v67, v73
	v_fma_f32 v3, v68, v73, -v3
	s_waitcnt vmcnt(0)
	v_mul_f32_e32 v4, v1, v59
	v_fmac_f32_e32 v4, v0, v58
	v_mul_f32_e32 v0, v0, v59
	v_fma_f32 v5, v1, v58, -v0
	v_add_u32_e32 v0, 0x2400, v36
	ds_write2_b64 v0, v[2:3], v[4:5] offset0:48 offset1:128
.LBB0_3:
	s_or_b64 exec, exec, s[6:7]
	v_mov_b32_e32 v0, 0
	v_mov_b32_e32 v1, 0
	s_waitcnt lgkmcnt(0)
	s_barrier
	s_waitcnt lgkmcnt(0)
                                        ; implicit-def: $vgpr30
                                        ; implicit-def: $vgpr32
                                        ; implicit-def: $vgpr26
                                        ; implicit-def: $vgpr22
                                        ; implicit-def: $vgpr18
                                        ; implicit-def: $vgpr14
                                        ; implicit-def: $vgpr10
                                        ; implicit-def: $vgpr6
	s_and_saveexec_b64 s[0:1], vcc
	s_cbranch_execz .LBB0_5
; %bb.4:
	v_lshl_add_u32 v32, v72, 3, v114
	v_add_u32_e32 v8, 0x800, v32
	v_add_u32_e32 v12, 0xc00, v32
	;; [unrolled: 1-line block ×6, first 2 shown]
	ds_read2_b64 v[0:3], v32 offset1:80
	ds_read2_b64 v[4:7], v32 offset0:160 offset1:240
	ds_read2_b64 v[8:11], v8 offset0:64 offset1:144
	;; [unrolled: 1-line block ×7, first 2 shown]
	ds_read_b64 v[32:33], v32 offset:10240
.LBB0_5:
	s_or_b64 exec, exec, s[0:1]
	s_waitcnt lgkmcnt(0)
	v_sub_f32_e32 v125, v3, v33
	v_mul_f32_e32 v44, 0xbeb8f4ab, v125
	v_sub_f32_e32 v126, v5, v31
	v_add_f32_e32 v64, v32, v2
	v_sub_f32_e32 v90, v2, v32
	v_mov_b32_e32 v34, v44
	v_mul_f32_e32 v46, 0xbf2c7751, v126
	s_load_dwordx2 s[6:7], s[4:5], 0x20
	s_load_dwordx2 s[2:3], s[4:5], 0x8
	v_add_f32_e32 v65, v33, v3
	s_mov_b32 s4, 0x3f6eb680
	v_mul_f32_e32 v45, 0xbeb8f4ab, v90
	v_fmac_f32_e32 v34, 0x3f6eb680, v64
	v_add_f32_e32 v66, v30, v4
	v_sub_f32_e32 v98, v4, v30
	v_mov_b32_e32 v38, v46
	v_add_f32_e32 v34, v34, v0
	v_fma_f32 v35, v65, s4, -v45
	s_mov_b32 s5, 0x3f3d2fb0
	v_mul_f32_e32 v49, 0xbf2c7751, v125
	v_add_f32_e32 v67, v31, v5
	v_mul_f32_e32 v47, 0xbf2c7751, v98
	v_fmac_f32_e32 v38, 0x3f3d2fb0, v66
	v_add_f32_e32 v35, v35, v1
	v_mov_b32_e32 v36, v49
	v_add_f32_e32 v34, v38, v34
	v_fma_f32 v38, v67, s5, -v47
	v_mul_f32_e32 v52, 0xbf7ee86f, v126
	v_mul_f32_e32 v58, 0xbf2c7751, v90
	v_fmac_f32_e32 v36, 0x3f3d2fb0, v64
	v_add_f32_e32 v35, v38, v35
	v_mov_b32_e32 v38, v52
	v_add_f32_e32 v36, v36, v0
	v_fma_f32 v37, v65, s5, -v58
	s_mov_b32 s8, 0x3dbcf732
	v_mul_f32_e32 v68, 0xbf7ee86f, v98
	v_fmac_f32_e32 v38, 0x3dbcf732, v66
	v_sub_f32_e32 v127, v7, v29
	v_add_f32_e32 v37, v37, v1
	v_add_f32_e32 v36, v38, v36
	v_fma_f32 v38, v67, s8, -v68
	v_mul_f32_e32 v48, 0xbf65296c, v127
	v_add_f32_e32 v37, v38, v37
	v_add_f32_e32 v74, v28, v6
	v_sub_f32_e32 v100, v6, v28
	v_mov_b32_e32 v38, v48
	v_add_f32_e32 v75, v29, v7
	s_mov_b32 s9, 0x3ee437d1
	v_mul_f32_e32 v50, 0xbf65296c, v100
	v_fmac_f32_e32 v38, 0x3ee437d1, v74
	v_add_f32_e32 v34, v38, v34
	v_fma_f32 v38, v75, s9, -v50
	v_mul_f32_e32 v55, 0xbf4c4adb, v127
	v_add_f32_e32 v35, v38, v35
	v_mov_b32_e32 v38, v55
	s_mov_b32 s10, 0xbf1a4643
	v_mul_f32_e32 v73, 0xbf4c4adb, v100
	v_fmac_f32_e32 v38, 0xbf1a4643, v74
	v_sub_f32_e32 v128, v9, v27
	v_add_f32_e32 v36, v38, v36
	v_fma_f32 v38, v75, s10, -v73
	v_mul_f32_e32 v51, 0xbf7ee86f, v128
	v_add_f32_e32 v37, v38, v37
	v_add_f32_e32 v77, v26, v8
	v_sub_f32_e32 v101, v8, v26
	v_mov_b32_e32 v38, v51
	v_add_f32_e32 v78, v27, v9
	v_mul_f32_e32 v53, 0xbf7ee86f, v101
	v_fmac_f32_e32 v38, 0x3dbcf732, v77
	v_add_f32_e32 v34, v38, v34
	v_fma_f32 v38, v78, s8, -v53
	v_mul_f32_e32 v59, 0xbe3c28d5, v128
	v_add_f32_e32 v35, v38, v35
	v_mov_b32_e32 v38, v59
	s_mov_b32 s16, 0xbf7ba420
	v_mul_f32_e32 v80, 0xbe3c28d5, v101
	v_fmac_f32_e32 v38, 0xbf7ba420, v77
	v_sub_f32_e32 v129, v11, v25
	v_add_f32_e32 v36, v38, v36
	v_fma_f32 v38, v78, s16, -v80
	v_mul_f32_e32 v54, 0xbf763a35, v129
	v_add_f32_e32 v37, v38, v37
	v_add_f32_e32 v82, v24, v10
	v_sub_f32_e32 v102, v10, v24
	v_mov_b32_e32 v38, v54
	v_add_f32_e32 v83, v25, v11
	s_mov_b32 s17, 0xbe8c1d8e
	v_mul_f32_e32 v56, 0xbf763a35, v102
	v_fmac_f32_e32 v38, 0xbe8c1d8e, v82
	v_add_f32_e32 v34, v38, v34
	v_fma_f32 v38, v83, s17, -v56
	v_mul_f32_e32 v71, 0x3f06c442, v129
	v_add_f32_e32 v35, v38, v35
	v_mov_b32_e32 v38, v71
	s_mov_b32 s11, 0xbf59a7d5
	v_mul_f32_e32 v84, 0x3f06c442, v102
	v_fmac_f32_e32 v38, 0xbf59a7d5, v82
	v_sub_f32_e32 v130, v13, v23
	v_add_f32_e32 v36, v38, v36
	v_fma_f32 v38, v83, s11, -v84
	v_mul_f32_e32 v57, 0xbf4c4adb, v130
	v_add_f32_e32 v37, v38, v37
	v_add_f32_e32 v87, v22, v12
	v_sub_f32_e32 v103, v12, v22
	v_mov_b32_e32 v38, v57
	v_add_f32_e32 v88, v23, v13
	v_mul_f32_e32 v70, 0xbf4c4adb, v103
	v_fmac_f32_e32 v38, 0xbf1a4643, v87
	v_add_f32_e32 v34, v38, v34
	v_fma_f32 v38, v88, s10, -v70
	v_mul_f32_e32 v81, 0x3f763a35, v130
	v_add_f32_e32 v35, v38, v35
	v_mov_b32_e32 v38, v81
	v_mul_f32_e32 v89, 0x3f763a35, v103
	v_fmac_f32_e32 v38, 0xbe8c1d8e, v87
	v_sub_f32_e32 v131, v15, v21
	v_add_f32_e32 v36, v38, v36
	v_fma_f32 v38, v88, s17, -v89
	v_mul_f32_e32 v69, 0xbf06c442, v131
	v_add_f32_e32 v37, v38, v37
	v_add_f32_e32 v91, v20, v14
	v_sub_f32_e32 v104, v14, v20
	v_mov_b32_e32 v38, v69
	v_add_f32_e32 v93, v21, v15
	v_mul_f32_e32 v79, 0xbf06c442, v104
	v_fmac_f32_e32 v38, 0xbf59a7d5, v91
	v_add_f32_e32 v34, v38, v34
	v_fma_f32 v38, v93, s11, -v79
	v_mul_f32_e32 v86, 0x3f65296c, v131
	v_add_f32_e32 v35, v38, v35
	v_mov_b32_e32 v38, v86
	;; [unrolled: 18-line block ×3, first 2 shown]
	v_mul_f32_e32 v99, 0x3eb8f4ab, v105
	v_fmac_f32_e32 v34, 0x3f6eb680, v96
	v_add_f32_e32 v60, v34, v36
	v_fma_f32 v34, v97, s4, -v99
	v_add_f32_e32 v61, v34, v37
	s_waitcnt lgkmcnt(0)
	s_barrier
	s_and_saveexec_b64 s[0:1], vcc
	s_cbranch_execz .LBB0_7
; %bb.6:
	v_mul_f32_e32 v106, 0x3ee437d1, v65
	v_mov_b32_e32 v34, v106
	v_mul_f32_e32 v110, 0xbf1a4643, v67
	v_fmac_f32_e32 v34, 0x3f65296c, v90
	v_mov_b32_e32 v35, v110
	v_add_f32_e32 v34, v34, v1
	v_fmac_f32_e32 v35, 0x3f4c4adb, v98
	v_mul_f32_e32 v112, 0xbf7ba420, v75
	v_add_f32_e32 v34, v35, v34
	v_mov_b32_e32 v35, v112
	v_fmac_f32_e32 v35, 0xbe3c28d5, v100
	v_mul_f32_e32 v117, 0xbe8c1d8e, v78
	v_add_f32_e32 v34, v35, v34
	v_mov_b32_e32 v35, v117
	v_fmac_f32_e32 v35, 0xbf763a35, v101
	v_mul_f32_e32 v120, 0x3f3d2fb0, v83
	v_add_f32_e32 v34, v35, v34
	v_mov_b32_e32 v35, v120
	v_fmac_f32_e32 v35, 0xbf2c7751, v102
	v_mul_f32_e32 v123, 0x3f6eb680, v88
	v_add_f32_e32 v34, v35, v34
	v_mov_b32_e32 v35, v123
	v_fmac_f32_e32 v35, 0x3eb8f4ab, v103
	v_mul_f32_e32 v121, 0x3dbcf732, v93
	v_add_f32_e32 v34, v35, v34
	v_mov_b32_e32 v35, v121
	v_fmac_f32_e32 v35, 0x3f7ee86f, v104
	v_mul_f32_e32 v122, 0xbf65296c, v125
	v_add_f32_e32 v34, v35, v34
	v_mov_b32_e32 v35, v122
	v_mul_f32_e32 v124, 0xbf4c4adb, v126
	v_fmac_f32_e32 v35, 0x3ee437d1, v64
	v_mov_b32_e32 v36, v124
	v_add_f32_e32 v35, v35, v0
	v_fmac_f32_e32 v36, 0xbf1a4643, v66
	v_mul_f32_e32 v118, 0x3e3c28d5, v127
	v_add_f32_e32 v35, v36, v35
	v_mov_b32_e32 v36, v118
	v_fmac_f32_e32 v36, 0xbf7ba420, v74
	v_mul_f32_e32 v116, 0x3f763a35, v128
	v_add_f32_e32 v35, v36, v35
	v_mov_b32_e32 v36, v116
	v_fmac_f32_e32 v36, 0xbe8c1d8e, v77
	v_mul_f32_e32 v119, 0x3f2c7751, v129
	v_add_f32_e32 v35, v36, v35
	v_mov_b32_e32 v36, v119
	v_fmac_f32_e32 v36, 0x3f3d2fb0, v82
	v_mul_f32_e32 v111, 0xbeb8f4ab, v130
	v_add_f32_e32 v35, v36, v35
	v_mov_b32_e32 v36, v111
	v_fmac_f32_e32 v36, 0x3f6eb680, v87
	v_mul_f32_e32 v108, 0xbf7ee86f, v131
	v_add_f32_e32 v35, v36, v35
	v_mov_b32_e32 v36, v108
	v_fmac_f32_e32 v36, 0x3dbcf732, v91
	v_mul_f32_e32 v107, 0xbf59a7d5, v97
	v_add_f32_e32 v36, v36, v35
	v_mov_b32_e32 v35, v107
	v_fmac_f32_e32 v35, 0x3f06c442, v105
	v_mul_f32_e32 v109, 0xbf06c442, v132
	v_add_f32_e32 v35, v35, v34
	v_mov_b32_e32 v34, v109
	v_fmac_f32_e32 v34, 0xbf59a7d5, v96
	v_mul_f32_e32 v135, 0x3dbcf732, v65
	v_add_f32_e32 v34, v34, v36
	v_mov_b32_e32 v36, v135
	v_mul_f32_e32 v136, 0xbf7ba420, v67
	v_fmac_f32_e32 v36, 0x3f7ee86f, v90
	v_mov_b32_e32 v37, v136
	v_add_f32_e32 v36, v36, v1
	v_fmac_f32_e32 v37, 0x3e3c28d5, v98
	v_mul_f32_e32 v137, 0xbe8c1d8e, v75
	v_add_f32_e32 v36, v37, v36
	v_mov_b32_e32 v37, v137
	v_fmac_f32_e32 v37, 0xbf763a35, v100
	v_mul_f32_e32 v138, 0x3f6eb680, v78
	v_add_f32_e32 v36, v37, v36
	v_mov_b32_e32 v37, v138
	v_fmac_f32_e32 v37, 0xbeb8f4ab, v101
	v_mul_f32_e32 v139, 0x3ee437d1, v83
	v_add_f32_e32 v36, v37, v36
	v_mov_b32_e32 v37, v139
	v_fmac_f32_e32 v37, 0x3f65296c, v102
	v_mul_f32_e32 v140, 0xbf59a7d5, v88
	v_add_f32_e32 v36, v37, v36
	v_mov_b32_e32 v37, v140
	v_fmac_f32_e32 v37, 0x3f06c442, v103
	v_mul_f32_e32 v141, 0xbf1a4643, v93
	v_add_f32_e32 v36, v37, v36
	v_mov_b32_e32 v37, v141
	v_fmac_f32_e32 v37, 0xbf4c4adb, v104
	v_mul_f32_e32 v142, 0xbf7ee86f, v125
	v_add_f32_e32 v36, v37, v36
	v_mov_b32_e32 v37, v142
	v_mul_f32_e32 v143, 0xbe3c28d5, v126
	v_fmac_f32_e32 v37, 0x3dbcf732, v64
	v_mov_b32_e32 v38, v143
	v_add_f32_e32 v37, v37, v0
	v_fmac_f32_e32 v38, 0xbf7ba420, v66
	v_mul_f32_e32 v144, 0x3f763a35, v127
	v_add_f32_e32 v37, v38, v37
	v_mov_b32_e32 v38, v144
	v_fmac_f32_e32 v38, 0xbe8c1d8e, v74
	v_mul_f32_e32 v145, 0x3eb8f4ab, v128
	v_add_f32_e32 v37, v38, v37
	v_mov_b32_e32 v38, v145
	v_fmac_f32_e32 v38, 0x3f6eb680, v77
	v_mul_f32_e32 v146, 0xbf65296c, v129
	v_add_f32_e32 v37, v38, v37
	v_mov_b32_e32 v38, v146
	v_fmac_f32_e32 v38, 0x3ee437d1, v82
	v_mul_f32_e32 v147, 0xbf06c442, v130
	v_add_f32_e32 v37, v38, v37
	v_mov_b32_e32 v38, v147
	v_fmac_f32_e32 v38, 0xbf59a7d5, v87
	v_mul_f32_e32 v148, 0x3f4c4adb, v131
	v_add_f32_e32 v37, v38, v37
	v_mov_b32_e32 v38, v148
	v_fmac_f32_e32 v38, 0xbf1a4643, v91
	v_mul_f32_e32 v149, 0x3f3d2fb0, v97
	v_add_f32_e32 v38, v38, v37
	v_mov_b32_e32 v37, v149
	v_fmac_f32_e32 v37, 0xbf2c7751, v105
	v_mul_f32_e32 v150, 0x3f2c7751, v132
	v_add_f32_e32 v37, v37, v36
	v_mov_b32_e32 v36, v150
	v_fmac_f32_e32 v36, 0x3f3d2fb0, v96
	v_mul_f32_e32 v133, 0xbe8c1d8e, v65
	v_add_f32_e32 v36, v36, v38
	;; [unrolled: 64-line block ×4, first 2 shown]
	v_mov_b32_e32 v42, v181
	v_mul_f32_e32 v182, 0x3ee437d1, v67
	v_fmac_f32_e32 v42, 0x3f06c442, v90
	v_mov_b32_e32 v43, v182
	v_add_f32_e32 v42, v42, v1
	v_fmac_f32_e32 v43, 0xbf65296c, v98
	v_mul_f32_e32 v183, 0x3dbcf732, v75
	v_add_f32_e32 v42, v43, v42
	v_mov_b32_e32 v43, v183
	v_fmac_f32_e32 v43, 0x3f7ee86f, v100
	v_mul_f32_e32 v184, 0xbf1a4643, v78
	v_add_f32_e32 v42, v43, v42
	v_mov_b32_e32 v43, v184
	;; [unrolled: 4-line block ×6, first 2 shown]
	v_mul_f32_e32 v189, 0x3f65296c, v126
	v_fmac_f32_e32 v43, 0xbf59a7d5, v64
	v_mov_b32_e32 v190, v189
	v_add_f32_e32 v43, v43, v0
	v_fmac_f32_e32 v190, 0x3ee437d1, v66
	v_add_f32_e32 v43, v190, v43
	v_mul_f32_e32 v190, 0xbf7ee86f, v127
	v_mov_b32_e32 v191, v190
	v_fmac_f32_e32 v191, 0x3dbcf732, v74
	v_add_f32_e32 v43, v191, v43
	v_mul_f32_e32 v191, 0x3f4c4adb, v128
	v_mov_b32_e32 v192, v191
	;; [unrolled: 4-line block ×5, first 2 shown]
	v_fmac_f32_e32 v195, 0x3f3d2fb0, v91
	v_mul_f32_e32 v196, 0xbe8c1d8e, v97
	v_add_f32_e32 v195, v195, v43
	v_mov_b32_e32 v43, v196
	v_fmac_f32_e32 v43, 0x3f763a35, v105
	v_mul_f32_e32 v197, 0xbf763a35, v132
	v_add_f32_e32 v43, v43, v42
	v_mov_b32_e32 v42, v197
	v_fmac_f32_e32 v42, 0xbe8c1d8e, v96
	v_add_f32_e32 v42, v42, v195
	v_mul_f32_e32 v195, 0xbf7ba420, v65
	v_mov_b32_e32 v198, v195
	v_mul_f32_e32 v199, 0x3f6eb680, v67
	v_fmac_f32_e32 v198, 0x3e3c28d5, v90
	v_mov_b32_e32 v200, v199
	v_add_f32_e32 v198, v198, v1
	v_fmac_f32_e32 v200, 0xbeb8f4ab, v98
	v_add_f32_e32 v198, v200, v198
	v_mul_f32_e32 v200, 0xbf59a7d5, v75
	v_mov_b32_e32 v201, v200
	v_fmac_f32_e32 v201, 0x3f06c442, v100
	v_add_f32_e32 v198, v201, v198
	v_mul_f32_e32 v201, 0x3f3d2fb0, v78
	v_mov_b32_e32 v202, v201
	;; [unrolled: 4-line block ×6, first 2 shown]
	v_mul_f32_e32 v206, 0x3eb8f4ab, v126
	v_fmac_f32_e32 v125, 0xbf7ba420, v64
	v_mov_b32_e32 v126, v206
	v_add_f32_e32 v125, v125, v0
	v_fmac_f32_e32 v126, 0x3f6eb680, v66
	v_mul_f32_e32 v127, 0xbf06c442, v127
	v_add_f32_e32 v125, v126, v125
	v_mov_b32_e32 v126, v127
	v_fmac_f32_e32 v126, 0xbf59a7d5, v74
	v_mul_f32_e32 v128, 0x3f2c7751, v128
	v_add_f32_e32 v125, v126, v125
	v_mov_b32_e32 v126, v128
	;; [unrolled: 4-line block ×7, first 2 shown]
	v_fmac_f32_e32 v198, 0x3dbcf732, v96
	v_fmac_f32_e32 v195, 0xbe3c28d5, v90
	v_add_f32_e32 v125, v198, v125
	v_add_f32_e32 v195, v195, v1
	v_fmac_f32_e32 v199, 0x3eb8f4ab, v98
	v_fma_f32 v198, v64, s16, -v205
	v_add_f32_e32 v195, v199, v195
	v_add_f32_e32 v198, v198, v0
	v_fma_f32 v199, v66, s4, -v206
	v_add_f32_e32 v198, v199, v198
	v_fma_f32 v127, v74, s11, -v127
	;; [unrolled: 2-line block ×7, first 2 shown]
	v_fmac_f32_e32 v181, 0xbf06c442, v90
	v_add_f32_e32 v127, v129, v127
	v_add_f32_e32 v129, v181, v1
	v_fmac_f32_e32 v182, 0x3f65296c, v98
	v_fma_f32 v130, v64, s11, -v188
	v_fmac_f32_e32 v166, 0x3f763a35, v98
	v_fmac_f32_e32 v134, 0x3f06c442, v98
	;; [unrolled: 1-line block ×4, first 2 shown]
	v_fma_f32 v98, v64, s9, -v122
	v_fmac_f32_e32 v200, 0xbf06c442, v100
	v_add_f32_e32 v129, v182, v129
	v_fmac_f32_e32 v183, 0xbf7ee86f, v100
	v_add_f32_e32 v130, v130, v0
	v_fma_f32 v131, v66, s9, -v189
	v_fmac_f32_e32 v167, 0xbeb8f4ab, v100
	v_fmac_f32_e32 v151, 0x3f2c7751, v100
	;; [unrolled: 1-line block ×4, first 2 shown]
	v_fma_f32 v100, v66, s10, -v124
	v_add_f32_e32 v98, v98, v0
	v_add_f32_e32 v129, v183, v129
	v_fmac_f32_e32 v184, 0x3f4c4adb, v101
	v_add_f32_e32 v130, v131, v130
	v_fma_f32 v131, v74, s8, -v190
	v_add_f32_e32 v98, v100, v98
	v_fma_f32 v100, v74, s16, -v118
	v_add_f32_e32 v129, v184, v129
	v_fmac_f32_e32 v185, 0xbeb8f4ab, v102
	v_add_f32_e32 v130, v131, v130
	v_fma_f32 v131, v77, s10, -v191
	v_add_f32_e32 v98, v100, v98
	v_fma_f32 v100, v77, s17, -v116
	;; [unrolled: 6-line block ×3, first 2 shown]
	v_fmac_f32_e32 v201, 0x3f2c7751, v101
	v_add_f32_e32 v129, v186, v129
	v_fmac_f32_e32 v187, 0x3f2c7751, v104
	v_add_f32_e32 v130, v131, v130
	v_fma_f32 v131, v87, s16, -v193
	v_fmac_f32_e32 v168, 0xbf06c442, v101
	v_fmac_f32_e32 v133, 0xbf763a35, v90
	;; [unrolled: 1-line block ×6, first 2 shown]
	v_add_f32_e32 v98, v100, v98
	v_fma_f32 v101, v87, s4, -v111
	v_fmac_f32_e32 v202, 0xbf4c4adb, v102
	v_fmac_f32_e32 v203, 0x3f65296c, v103
	v_add_f32_e32 v129, v187, v129
	v_add_f32_e32 v130, v131, v130
	v_fma_f32 v131, v91, s5, -v194
	v_fmac_f32_e32 v196, 0xbf763a35, v105
	v_fmac_f32_e32 v169, 0x3f7ee86f, v102
	;; [unrolled: 1-line block ×3, first 2 shown]
	v_add_f32_e32 v133, v133, v1
	v_fmac_f32_e32 v153, 0xbe3c28d5, v102
	v_fmac_f32_e32 v154, 0x3f7ee86f, v103
	v_add_f32_e32 v135, v135, v1
	v_fmac_f32_e32 v139, 0xbf65296c, v102
	v_fmac_f32_e32 v140, 0xbf06c442, v103
	;; [unrolled: 1-line block ×5, first 2 shown]
	v_mul_f32_e32 v100, 0x3f6eb680, v64
	v_add_f32_e32 v98, v101, v98
	v_mul_f32_e32 v101, 0x3f6eb680, v65
	v_mul_f32_e32 v102, 0x3f3d2fb0, v64
	;; [unrolled: 1-line block ×3, first 2 shown]
	v_add_f32_e32 v131, v131, v130
	v_add_f32_e32 v130, v196, v129
	v_fma_f32 v129, v96, s17, -v197
	v_fmac_f32_e32 v165, 0xbf4c4adb, v90
	v_fma_f32 v132, v64, s10, -v172
	v_add_f32_e32 v133, v134, v133
	v_fma_f32 v134, v64, s17, -v156
	v_add_f32_e32 v135, v136, v135
	;; [unrolled: 2-line block ×3, first 2 shown]
	v_add_f32_e32 v58, v58, v103
	v_sub_f32_e32 v49, v102, v49
	v_add_f32_e32 v45, v45, v101
	v_sub_f32_e32 v44, v100, v44
	v_add_f32_e32 v129, v129, v131
	v_add_f32_e32 v131, v165, v1
	;; [unrolled: 1-line block ×22, first 2 shown]
	v_fmac_f32_e32 v121, 0xbf7ee86f, v104
	v_add_f32_e32 v1, v11, v1
	v_add_f32_e32 v0, v10, v0
	;; [unrolled: 1-line block ×3, first 2 shown]
	v_fmac_f32_e32 v107, 0xbf06c442, v105
	v_fma_f32 v64, v91, s8, -v108
	v_add_f32_e32 v1, v13, v1
	v_add_f32_e32 v0, v12, v0
	;; [unrolled: 1-line block ×4, first 2 shown]
	v_fma_f32 v90, v96, s11, -v109
	v_add_f32_e32 v1, v15, v1
	v_add_f32_e32 v0, v14, v0
	v_fma_f32 v165, v66, s17, -v173
	v_add_f32_e32 v133, v151, v133
	v_fma_f32 v151, v66, s11, -v157
	;; [unrolled: 2-line block ×3, first 2 shown]
	v_mul_f32_e32 v98, 0x3f3d2fb0, v66
	v_add_f32_e32 v64, v90, v64
	v_mul_f32_e32 v90, 0x3f3d2fb0, v67
	v_mul_f32_e32 v67, 0x3dbcf732, v67
	v_add_f32_e32 v1, v17, v1
	v_add_f32_e32 v0, v16, v0
	v_fmac_f32_e32 v204, 0xbf763a35, v104
	v_add_f32_e32 v131, v166, v131
	v_fmac_f32_e32 v171, 0xbe3c28d5, v104
	v_add_f32_e32 v132, v165, v132
	v_fma_f32 v165, v74, s4, -v174
	v_fmac_f32_e32 v155, 0xbeb8f4ab, v104
	v_add_f32_e32 v134, v151, v134
	v_fma_f32 v151, v74, s5, -v158
	;; [unrolled: 3-line block ×3, first 2 shown]
	v_mul_f32_e32 v66, 0x3dbcf732, v66
	v_mul_f32_e32 v104, 0x3ee437d1, v74
	;; [unrolled: 1-line block ×4, first 2 shown]
	v_add_f32_e32 v67, v68, v67
	v_add_f32_e32 v47, v47, v90
	v_sub_f32_e32 v46, v98, v46
	v_add_f32_e32 v1, v19, v1
	v_add_f32_e32 v0, v18, v0
	v_fmac_f32_e32 v207, 0x3f7ee86f, v105
	v_add_f32_e32 v131, v167, v131
	v_add_f32_e32 v132, v165, v132
	v_fma_f32 v165, v77, s11, -v175
	v_fmac_f32_e32 v179, 0x3f65296c, v105
	v_add_f32_e32 v134, v151, v134
	v_fma_f32 v151, v77, s9, -v159
	v_fmac_f32_e32 v163, 0xbf4c4adb, v105
	;; [unrolled: 3-line block ×3, first 2 shown]
	v_mul_f32_e32 v74, 0xbf1a4643, v74
	v_mul_f32_e32 v68, 0x3dbcf732, v77
	v_add_f32_e32 v58, v67, v58
	v_mul_f32_e32 v105, 0x3dbcf732, v78
	v_mul_f32_e32 v67, 0xbf7ba420, v78
	v_add_f32_e32 v73, v73, v75
	v_sub_f32_e32 v52, v66, v52
	v_add_f32_e32 v45, v47, v45
	v_add_f32_e32 v47, v50, v103
	v_add_f32_e32 v44, v46, v44
	v_sub_f32_e32 v46, v104, v48
	v_add_f32_e32 v1, v21, v1
	v_add_f32_e32 v0, v20, v0
	;; [unrolled: 1-line block ×4, first 2 shown]
	v_fma_f32 v165, v82, s8, -v176
	v_add_f32_e32 v133, v152, v133
	v_add_f32_e32 v134, v151, v134
	v_fma_f32 v151, v82, s16, -v160
	v_add_f32_e32 v135, v138, v135
	v_add_f32_e32 v136, v137, v136
	v_fma_f32 v137, v82, s9, -v146
	v_mul_f32_e32 v77, 0xbf7ba420, v77
	v_mul_f32_e32 v75, 0xbe8c1d8e, v82
	v_add_f32_e32 v58, v73, v58
	v_mul_f32_e32 v73, 0xbe8c1d8e, v83
	v_mul_f32_e32 v78, 0xbf59a7d5, v82
	;; [unrolled: 1-line block ×3, first 2 shown]
	v_add_f32_e32 v67, v80, v67
	v_add_f32_e32 v49, v52, v49
	v_sub_f32_e32 v52, v74, v55
	v_add_f32_e32 v45, v47, v45
	v_add_f32_e32 v47, v53, v105
	;; [unrolled: 1-line block ×3, first 2 shown]
	v_sub_f32_e32 v46, v68, v51
	v_add_f32_e32 v1, v23, v1
	v_add_f32_e32 v0, v22, v0
	;; [unrolled: 1-line block ×6, first 2 shown]
	v_mul_f32_e32 v80, 0xbf1a4643, v87
	v_add_f32_e32 v58, v67, v58
	v_mul_f32_e32 v83, 0xbf1a4643, v88
	v_add_f32_e32 v82, v84, v82
	v_add_f32_e32 v49, v52, v49
	v_sub_f32_e32 v52, v77, v59
	v_add_f32_e32 v45, v47, v45
	v_add_f32_e32 v47, v56, v73
	;; [unrolled: 1-line block ×3, first 2 shown]
	v_sub_f32_e32 v46, v75, v54
	v_add_f32_e32 v1, v25, v1
	v_add_f32_e32 v0, v24, v0
	;; [unrolled: 1-line block ×5, first 2 shown]
	v_fma_f32 v165, v87, s5, -v177
	v_add_f32_e32 v133, v154, v133
	v_add_f32_e32 v134, v151, v134
	v_fma_f32 v151, v87, s8, -v161
	v_add_f32_e32 v135, v140, v135
	v_add_f32_e32 v136, v137, v136
	v_fma_f32 v137, v87, s11, -v147
	v_mul_f32_e32 v87, 0xbe8c1d8e, v87
	v_mul_f32_e32 v67, 0xbe8c1d8e, v88
	v_mul_f32_e32 v84, 0xbf59a7d5, v91
	v_add_f32_e32 v58, v82, v58
	v_mul_f32_e32 v82, 0xbf59a7d5, v93
	v_add_f32_e32 v49, v52, v49
	v_sub_f32_e32 v52, v78, v71
	v_add_f32_e32 v45, v47, v45
	v_add_f32_e32 v47, v70, v83
	;; [unrolled: 1-line block ×3, first 2 shown]
	v_sub_f32_e32 v46, v80, v57
	v_add_f32_e32 v1, v27, v1
	v_add_f32_e32 v0, v26, v0
	;; [unrolled: 1-line block ×5, first 2 shown]
	v_fma_f32 v165, v91, s16, -v178
	v_add_f32_e32 v133, v155, v133
	v_add_f32_e32 v134, v151, v134
	v_fma_f32 v151, v91, s4, -v162
	v_add_f32_e32 v135, v141, v135
	v_add_f32_e32 v136, v137, v136
	v_fma_f32 v137, v91, s10, -v148
	v_mul_f32_e32 v88, 0x3ee437d1, v91
	v_mul_f32_e32 v91, 0x3ee437d1, v93
	v_add_f32_e32 v67, v89, v67
	v_mul_f32_e32 v89, 0xbf7ba420, v96
	v_mul_f32_e32 v93, 0xbf7ba420, v97
	v_add_f32_e32 v49, v52, v49
	v_sub_f32_e32 v52, v87, v81
	v_add_f32_e32 v45, v47, v45
	v_add_f32_e32 v47, v79, v82
	;; [unrolled: 1-line block ×3, first 2 shown]
	v_sub_f32_e32 v46, v84, v69
	v_add_f32_e32 v1, v29, v1
	v_add_f32_e32 v0, v28, v0
	;; [unrolled: 1-line block ×5, first 2 shown]
	v_fma_f32 v131, v96, s9, -v180
	v_add_f32_e32 v151, v151, v134
	v_add_f32_e32 v134, v163, v133
	v_fma_f32 v133, v96, s10, -v164
	v_add_f32_e32 v137, v137, v136
	v_add_f32_e32 v136, v149, v135
	v_fma_f32 v135, v96, s5, -v150
	v_add_f32_e32 v58, v67, v58
	v_mul_f32_e32 v96, 0x3f6eb680, v96
	v_mul_f32_e32 v67, 0x3f6eb680, v97
	v_add_f32_e32 v91, v95, v91
	v_add_f32_e32 v49, v52, v49
	v_sub_f32_e32 v52, v88, v86
	v_add_f32_e32 v45, v47, v45
	v_add_f32_e32 v47, v85, v93
	v_add_f32_e32 v44, v46, v44
	v_sub_f32_e32 v46, v89, v76
	v_add_f32_e32 v1, v31, v1
	v_add_f32_e32 v0, v30, v0
	v_mul_lo_u16_e32 v2, 17, v113
	v_add_f32_e32 v195, v204, v195
	v_add_f32_e32 v58, v91, v58
	;; [unrolled: 1-line block ×4, first 2 shown]
	v_sub_f32_e32 v52, v96, v94
	v_add_f32_e32 v45, v47, v45
	v_add_f32_e32 v44, v46, v44
	;; [unrolled: 1-line block ×4, first 2 shown]
	v_add_lshl_u32 v2, v72, v2, 3
	v_add_f32_e32 v128, v207, v195
	v_add_f32_e32 v131, v131, v165
	;; [unrolled: 1-line block ×6, first 2 shown]
	ds_write2_b64 v2, v[0:1], v[44:45] offset1:1
	ds_write2_b64 v2, v[66:67], v[64:65] offset0:2 offset1:3
	ds_write2_b64 v2, v[135:136], v[133:134] offset0:4 offset1:5
	;; [unrolled: 1-line block ×7, first 2 shown]
	ds_write_b64 v2, v[62:63] offset:128
.LBB0_7:
	s_or_b64 exec, exec, s[0:1]
	v_add_lshl_u32 v116, v72, v113, 3
	v_add_u32_e32 v0, 0x400, v116
	s_waitcnt lgkmcnt(0)
	s_barrier
	ds_read2_b64 v[32:35], v0 offset0:42 offset1:144
	v_add_u32_e32 v0, 0x1000, v116
	ds_read2_b64 v[44:47], v0 offset0:32 offset1:117
	v_add_u32_e32 v0, 0x1400, v116
	;; [unrolled: 2-line block ×5, first 2 shown]
	ds_read2_b64 v[36:39], v116 offset1:85
	ds_read2_b64 v[56:59], v0 offset0:133 offset1:218
	ds_read_b64 v[64:65], v116 offset:10064
	v_cmp_gt_u16_e64 s[0:1], 17, v113
                                        ; implicit-def: $vgpr66
                                        ; implicit-def: $vgpr68
                                        ; implicit-def: $vgpr70
	s_and_saveexec_b64 s[4:5], s[0:1]
	s_cbranch_execz .LBB0_9
; %bb.8:
	ds_read_b64 v[60:61], v116 offset:2040
	ds_read_b64 v[62:63], v116 offset:4216
	ds_read_b64 v[66:67], v116 offset:6392
	ds_read_b64 v[68:69], v116 offset:8568
	ds_read_b64 v[70:71], v116 offset:10744
.LBB0_9:
	s_or_b64 exec, exec, s[4:5]
	s_movk_i32 s4, 0xf1
	v_mul_lo_u16_sdwa v0, v113, s4 dst_sel:DWORD dst_unused:UNUSED_PAD src0_sel:BYTE_0 src1_sel:DWORD
	v_lshrrev_b16_e32 v75, 12, v0
	v_mul_lo_u16_e32 v0, 17, v75
	v_sub_u16_e32 v76, v113, v0
	v_mov_b32_e32 v0, 5
	v_lshlrev_b32_sdwa v1, v0, v76 dst_sel:DWORD dst_unused:UNUSED_PAD src0_sel:DWORD src1_sel:BYTE_0
	global_load_dwordx4 v[12:15], v1, s[2:3]
	global_load_dwordx4 v[8:11], v1, s[2:3] offset:16
	v_add_u16_e32 v1, 0x55, v113
	v_mul_lo_u16_sdwa v2, v1, s4 dst_sel:DWORD dst_unused:UNUSED_PAD src0_sel:BYTE_0 src1_sel:DWORD
	v_lshrrev_b16_e32 v77, 12, v2
	v_mul_lo_u16_e32 v2, 17, v77
	v_sub_u16_e32 v78, v1, v2
	v_lshlrev_b32_sdwa v1, v0, v78 dst_sel:DWORD dst_unused:UNUSED_PAD src0_sel:DWORD src1_sel:BYTE_0
	global_load_dwordx4 v[20:23], v1, s[2:3]
	global_load_dwordx4 v[16:19], v1, s[2:3] offset:16
	v_add_u16_e32 v1, 0xaa, v113
	v_mul_lo_u16_sdwa v2, v1, s4 dst_sel:DWORD dst_unused:UNUSED_PAD src0_sel:BYTE_0 src1_sel:DWORD
	v_lshrrev_b16_e32 v79, 12, v2
	v_mul_lo_u16_e32 v2, 17, v79
	v_sub_u16_e32 v80, v1, v2
	v_lshlrev_b32_sdwa v0, v0, v80 dst_sel:DWORD dst_unused:UNUSED_PAD src0_sel:DWORD src1_sel:BYTE_0
	global_load_dwordx4 v[28:31], v0, s[2:3]
	global_load_dwordx4 v[24:27], v0, s[2:3] offset:16
	v_add_u32_e32 v0, 0xff, v113
	s_mov_b32 s4, 0xf0f1
	v_mul_u32_u24_sdwa v1, v0, s4 dst_sel:DWORD dst_unused:UNUSED_PAD src0_sel:WORD_0 src1_sel:DWORD
	v_lshrrev_b32_e32 v1, 20, v1
	v_mul_lo_u16_e32 v1, 17, v1
	v_sub_u16_e32 v118, v0, v1
	v_lshlrev_b16_e32 v0, 2, v118
	v_lshlrev_b32_e32 v73, 3, v0
	global_load_dwordx4 v[4:7], v73, s[2:3]
	global_load_dwordx4 v[0:3], v73, s[2:3] offset:16
	v_mul_u32_u24_e32 v75, 0x55, v75
	v_add_u32_sdwa v75, v75, v76 dst_sel:DWORD dst_unused:UNUSED_PAD src0_sel:DWORD src1_sel:BYTE_0
	v_add_lshl_u32 v119, v72, v75, 3
	s_load_dwordx4 s[4:7], s[6:7], 0x0
	s_waitcnt vmcnt(0) lgkmcnt(0)
	s_barrier
	v_mul_f32_e32 v81, v45, v15
	v_mul_f32_e32 v83, v43, v9
	v_fma_f32 v81, v44, v14, -v81
	v_fma_f32 v83, v42, v8, -v83
	v_mul_f32_e32 v74, v34, v13
	v_mul_f32_e32 v85, v49, v11
	;; [unrolled: 1-line block ×5, first 2 shown]
	v_fmac_f32_e32 v90, v47, v22
	v_add_f32_e32 v47, v81, v83
	v_mul_f32_e32 v73, v35, v13
	v_mul_f32_e32 v82, v44, v15
	;; [unrolled: 1-line block ×4, first 2 shown]
	v_fmac_f32_e32 v74, v35, v12
	v_fma_f32 v85, v48, v10, -v85
	v_fmac_f32_e32 v86, v49, v10
	v_fma_f32 v48, -0.5, v47, v36
	v_mul_f32_e32 v87, v53, v21
	v_mul_f32_e32 v95, v50, v19
	v_fma_f32 v73, v34, v12, -v73
	v_fmac_f32_e32 v82, v45, v14
	v_fmac_f32_e32 v84, v43, v8
	v_fma_f32 v94, v50, v18, -v94
	v_sub_f32_e32 v47, v74, v86
	v_mov_b32_e32 v50, v48
	v_mul_f32_e32 v88, v52, v21
	v_fma_f32 v87, v52, v20, -v87
	v_fmac_f32_e32 v95, v51, v18
	v_fmac_f32_e32 v50, 0x3f737871, v47
	v_sub_f32_e32 v49, v82, v84
	v_sub_f32_e32 v51, v73, v81
	;; [unrolled: 1-line block ×3, first 2 shown]
	v_fmac_f32_e32 v48, 0xbf737871, v47
	v_fmac_f32_e32 v50, 0x3f167918, v49
	v_add_f32_e32 v51, v51, v52
	v_fmac_f32_e32 v48, 0xbf167918, v49
	v_fmac_f32_e32 v50, 0x3e9e377a, v51
	;; [unrolled: 1-line block ×3, first 2 shown]
	v_add_f32_e32 v51, v73, v85
	v_fma_f32 v89, v46, v22, -v89
	v_add_f32_e32 v46, v36, v73
	v_fma_f32 v36, -0.5, v51, v36
	v_mov_b32_e32 v52, v36
	v_fmac_f32_e32 v88, v53, v20
	v_fmac_f32_e32 v52, 0xbf737871, v49
	v_sub_f32_e32 v51, v81, v73
	v_sub_f32_e32 v53, v83, v85
	v_fmac_f32_e32 v36, 0x3f737871, v49
	v_add_f32_e32 v49, v82, v84
	v_mul_f32_e32 v96, v55, v29
	v_fmac_f32_e32 v52, 0x3f167918, v47
	v_add_f32_e32 v51, v51, v53
	v_fmac_f32_e32 v36, 0xbf167918, v47
	v_fma_f32 v49, -0.5, v49, v37
	v_mul_f32_e32 v91, v57, v17
	v_mul_f32_e32 v97, v54, v29
	v_fma_f32 v96, v54, v28, -v96
	v_fmac_f32_e32 v52, 0x3e9e377a, v51
	v_fmac_f32_e32 v36, 0x3e9e377a, v51
	v_sub_f32_e32 v54, v73, v85
	v_mov_b32_e32 v51, v49
	v_mul_f32_e32 v93, v56, v17
	v_fma_f32 v91, v56, v16, -v91
	v_fmac_f32_e32 v97, v55, v28
	v_fmac_f32_e32 v51, 0xbf737871, v54
	v_sub_f32_e32 v55, v81, v83
	v_sub_f32_e32 v53, v74, v82
	;; [unrolled: 1-line block ×3, first 2 shown]
	v_fmac_f32_e32 v49, 0x3f737871, v54
	v_fmac_f32_e32 v51, 0xbf167918, v55
	v_add_f32_e32 v53, v53, v56
	v_fmac_f32_e32 v49, 0x3f167918, v55
	v_fmac_f32_e32 v51, 0x3e9e377a, v53
	;; [unrolled: 1-line block ×3, first 2 shown]
	v_add_f32_e32 v53, v74, v86
	v_add_f32_e32 v47, v37, v74
	v_fma_f32 v37, -0.5, v53, v37
	v_mov_b32_e32 v53, v37
	v_fmac_f32_e32 v93, v57, v16
	v_fmac_f32_e32 v53, 0x3f737871, v55
	v_sub_f32_e32 v56, v82, v74
	v_sub_f32_e32 v57, v84, v86
	v_fmac_f32_e32 v37, 0xbf737871, v55
	v_fmac_f32_e32 v53, 0xbf167918, v54
	v_add_f32_e32 v56, v56, v57
	v_fmac_f32_e32 v37, 0x3f167918, v54
	v_add_f32_e32 v55, v89, v91
	v_mul_f32_e32 v100, v59, v25
	v_fmac_f32_e32 v53, 0x3e9e377a, v56
	v_fmac_f32_e32 v37, 0x3e9e377a, v56
	v_fma_f32 v56, -0.5, v55, v38
	v_mul_f32_e32 v101, v58, v25
	v_fma_f32 v100, v58, v24, -v100
	v_mul_f32_e32 v34, v63, v5
	v_sub_f32_e32 v55, v88, v95
	v_mov_b32_e32 v58, v56
	v_fmac_f32_e32 v101, v59, v24
	v_mul_f32_e32 v35, v62, v5
	v_fma_f32 v34, v62, v4, -v34
	v_fmac_f32_e32 v58, 0x3f737871, v55
	v_sub_f32_e32 v57, v90, v93
	v_sub_f32_e32 v59, v87, v89
	;; [unrolled: 1-line block ×3, first 2 shown]
	v_fmac_f32_e32 v56, 0xbf737871, v55
	v_fmac_f32_e32 v58, 0x3f167918, v57
	v_add_f32_e32 v59, v59, v62
	v_fmac_f32_e32 v56, 0xbf167918, v57
	v_fmac_f32_e32 v58, 0x3e9e377a, v59
	;; [unrolled: 1-line block ×3, first 2 shown]
	v_add_f32_e32 v59, v87, v94
	v_mul_f32_e32 v102, v65, v27
	v_add_f32_e32 v54, v38, v87
	v_fma_f32 v38, -0.5, v59, v38
	v_mul_f32_e32 v103, v64, v27
	v_fma_f32 v102, v64, v26, -v102
	v_mov_b32_e32 v64, v38
	v_fmac_f32_e32 v64, 0xbf737871, v57
	v_sub_f32_e32 v59, v89, v87
	v_sub_f32_e32 v62, v91, v94
	v_fmac_f32_e32 v38, 0x3f737871, v57
	v_add_f32_e32 v57, v90, v93
	v_mul_f32_e32 v98, v41, v31
	v_fmac_f32_e32 v64, 0x3f167918, v55
	v_add_f32_e32 v59, v59, v62
	v_fmac_f32_e32 v38, 0xbf167918, v55
	v_fma_f32 v57, -0.5, v57, v39
	v_mul_f32_e32 v99, v40, v31
	v_fma_f32 v98, v40, v30, -v98
	v_mul_f32_e32 v40, v67, v7
	v_fmac_f32_e32 v64, 0x3e9e377a, v59
	v_fmac_f32_e32 v38, 0x3e9e377a, v59
	v_sub_f32_e32 v62, v87, v94
	v_mov_b32_e32 v59, v57
	v_fmac_f32_e32 v103, v65, v26
	v_fmac_f32_e32 v35, v63, v4
	v_fma_f32 v40, v66, v6, -v40
	v_mul_f32_e32 v42, v66, v7
	v_fmac_f32_e32 v59, 0xbf737871, v62
	v_sub_f32_e32 v63, v89, v91
	v_sub_f32_e32 v65, v88, v90
	;; [unrolled: 1-line block ×3, first 2 shown]
	v_fmac_f32_e32 v57, 0x3f737871, v62
	v_fmac_f32_e32 v59, 0xbf167918, v63
	v_add_f32_e32 v65, v65, v66
	v_fmac_f32_e32 v57, 0x3f167918, v63
	v_fmac_f32_e32 v59, 0x3e9e377a, v65
	;; [unrolled: 1-line block ×3, first 2 shown]
	v_add_f32_e32 v65, v88, v95
	v_add_f32_e32 v55, v39, v88
	v_fmac_f32_e32 v39, -0.5, v65
	v_mov_b32_e32 v65, v39
	v_fmac_f32_e32 v65, 0x3f737871, v63
	v_fmac_f32_e32 v39, 0xbf737871, v63
	v_fmac_f32_e32 v65, 0xbf167918, v62
	v_fmac_f32_e32 v39, 0x3f167918, v62
	v_add_f32_e32 v62, v32, v96
	v_fmac_f32_e32 v42, v67, v6
	v_sub_f32_e32 v66, v90, v88
	v_sub_f32_e32 v67, v93, v95
	v_add_f32_e32 v62, v62, v98
	v_add_f32_e32 v66, v66, v67
	;; [unrolled: 1-line block ×3, first 2 shown]
	v_fmac_f32_e32 v99, v41, v30
	v_mul_f32_e32 v41, v69, v1
	v_fmac_f32_e32 v65, 0x3e9e377a, v66
	v_fmac_f32_e32 v39, 0x3e9e377a, v66
	v_add_f32_e32 v66, v62, v102
	v_add_f32_e32 v62, v98, v100
	v_fma_f32 v41, v68, v0, -v41
	v_mul_f32_e32 v44, v68, v1
	v_mul_f32_e32 v43, v71, v3
	v_fma_f32 v68, -0.5, v62, v32
	v_fma_f32 v43, v70, v2, -v43
	v_mul_f32_e32 v45, v70, v3
	v_sub_f32_e32 v62, v97, v103
	v_mov_b32_e32 v70, v68
	v_fmac_f32_e32 v44, v69, v0
	v_fmac_f32_e32 v70, 0x3f737871, v62
	v_sub_f32_e32 v63, v99, v101
	v_sub_f32_e32 v67, v96, v98
	v_sub_f32_e32 v69, v102, v100
	v_fmac_f32_e32 v68, 0xbf737871, v62
	v_fmac_f32_e32 v70, 0x3f167918, v63
	v_add_f32_e32 v67, v67, v69
	v_fmac_f32_e32 v68, 0xbf167918, v63
	v_fmac_f32_e32 v70, 0x3e9e377a, v67
	;; [unrolled: 1-line block ×3, first 2 shown]
	v_add_f32_e32 v67, v96, v102
	v_fma_f32 v32, -0.5, v67, v32
	v_mov_b32_e32 v73, v32
	v_fmac_f32_e32 v73, 0xbf737871, v63
	v_fmac_f32_e32 v32, 0x3f737871, v63
	;; [unrolled: 1-line block ×4, first 2 shown]
	v_add_f32_e32 v62, v33, v97
	v_sub_f32_e32 v67, v98, v96
	v_sub_f32_e32 v69, v100, v102
	v_add_f32_e32 v62, v62, v99
	v_add_f32_e32 v67, v67, v69
	;; [unrolled: 1-line block ×3, first 2 shown]
	v_fmac_f32_e32 v73, 0x3e9e377a, v67
	v_fmac_f32_e32 v32, 0x3e9e377a, v67
	v_add_f32_e32 v67, v62, v103
	v_add_f32_e32 v62, v99, v101
	v_fma_f32 v69, -0.5, v62, v33
	v_fmac_f32_e32 v45, v71, v2
	v_sub_f32_e32 v62, v96, v102
	v_mov_b32_e32 v71, v69
	v_add_f32_e32 v46, v46, v81
	v_fmac_f32_e32 v71, 0xbf737871, v62
	v_sub_f32_e32 v63, v98, v100
	v_sub_f32_e32 v74, v97, v99
	;; [unrolled: 1-line block ×3, first 2 shown]
	v_fmac_f32_e32 v69, 0x3f737871, v62
	v_fmac_f32_e32 v71, 0xbf167918, v63
	v_add_f32_e32 v74, v74, v81
	v_fmac_f32_e32 v69, 0x3f167918, v63
	v_fmac_f32_e32 v71, 0x3e9e377a, v74
	;; [unrolled: 1-line block ×3, first 2 shown]
	v_add_f32_e32 v74, v97, v103
	v_fmac_f32_e32 v33, -0.5, v74
	v_mov_b32_e32 v74, v33
	v_fmac_f32_e32 v74, 0x3f737871, v63
	v_fmac_f32_e32 v33, 0xbf737871, v63
	v_add_f32_e32 v55, v55, v90
	v_fmac_f32_e32 v74, 0xbf167918, v62
	v_fmac_f32_e32 v33, 0x3f167918, v62
	v_add_f32_e32 v62, v40, v41
	v_add_f32_e32 v47, v47, v82
	;; [unrolled: 1-line block ×3, first 2 shown]
	v_sub_f32_e32 v81, v99, v97
	v_sub_f32_e32 v82, v101, v103
	v_fma_f32 v93, -0.5, v62, v60
	v_add_f32_e32 v81, v81, v82
	v_sub_f32_e32 v63, v35, v45
	v_mov_b32_e32 v62, v93
	v_add_f32_e32 v46, v46, v83
	v_fmac_f32_e32 v74, 0x3e9e377a, v81
	v_fmac_f32_e32 v33, 0x3e9e377a, v81
	;; [unrolled: 1-line block ×3, first 2 shown]
	v_sub_f32_e32 v81, v42, v44
	v_sub_f32_e32 v82, v34, v40
	;; [unrolled: 1-line block ×3, first 2 shown]
	v_fmac_f32_e32 v93, 0xbf737871, v63
	v_fmac_f32_e32 v62, 0x3f167918, v81
	v_add_f32_e32 v82, v82, v83
	v_fmac_f32_e32 v93, 0xbf167918, v81
	v_fmac_f32_e32 v62, 0x3e9e377a, v82
	;; [unrolled: 1-line block ×3, first 2 shown]
	v_add_f32_e32 v82, v34, v43
	v_add_f32_e32 v55, v55, v95
	v_fma_f32 v95, -0.5, v82, v60
	v_mov_b32_e32 v97, v95
	v_add_f32_e32 v54, v54, v89
	v_fmac_f32_e32 v97, 0xbf737871, v81
	v_fmac_f32_e32 v95, 0x3f737871, v81
	v_add_f32_e32 v54, v54, v91
	v_fmac_f32_e32 v97, 0x3f167918, v63
	v_fmac_f32_e32 v95, 0xbf167918, v63
	v_add_f32_e32 v63, v42, v44
	v_add_f32_e32 v54, v54, v94
	v_sub_f32_e32 v82, v40, v34
	v_sub_f32_e32 v83, v41, v43
	v_fma_f32 v94, -0.5, v63, v61
	v_add_f32_e32 v82, v82, v83
	v_sub_f32_e32 v81, v34, v43
	v_mov_b32_e32 v63, v94
	v_add_f32_e32 v47, v47, v84
	v_fmac_f32_e32 v97, 0x3e9e377a, v82
	v_fmac_f32_e32 v95, 0x3e9e377a, v82
	;; [unrolled: 1-line block ×3, first 2 shown]
	v_sub_f32_e32 v82, v40, v41
	v_sub_f32_e32 v83, v35, v42
	;; [unrolled: 1-line block ×3, first 2 shown]
	v_fmac_f32_e32 v94, 0x3f737871, v81
	v_fmac_f32_e32 v63, 0xbf167918, v82
	v_add_f32_e32 v83, v83, v84
	v_fmac_f32_e32 v94, 0x3f167918, v82
	v_add_f32_e32 v46, v46, v85
	v_add_f32_e32 v47, v47, v86
	v_fmac_f32_e32 v63, 0x3e9e377a, v83
	v_fmac_f32_e32 v94, 0x3e9e377a, v83
	v_add_f32_e32 v83, v35, v45
	v_fma_f32 v96, -0.5, v83, v61
	ds_write2_b64 v119, v[46:47], v[50:51] offset1:17
	ds_write2_b64 v119, v[52:53], v[36:37] offset0:34 offset1:51
	ds_write_b64 v119, v[48:49] offset:544
	v_mul_u32_u24_e32 v36, 0x55, v77
	v_mov_b32_e32 v98, v96
	v_add_u32_sdwa v36, v36, v78 dst_sel:DWORD dst_unused:UNUSED_PAD src0_sel:DWORD src1_sel:BYTE_0
	v_fmac_f32_e32 v98, 0x3f737871, v82
	v_sub_f32_e32 v83, v42, v35
	v_sub_f32_e32 v84, v44, v45
	v_fmac_f32_e32 v96, 0xbf737871, v82
	v_add_lshl_u32 v120, v72, v36, 3
	v_mul_u32_u24_e32 v36, 0x55, v79
	v_fmac_f32_e32 v98, 0xbf167918, v81
	v_add_f32_e32 v83, v83, v84
	v_fmac_f32_e32 v96, 0x3f167918, v81
	v_add_u32_sdwa v36, v36, v80 dst_sel:DWORD dst_unused:UNUSED_PAD src0_sel:DWORD src1_sel:BYTE_0
	v_fmac_f32_e32 v98, 0x3e9e377a, v83
	v_fmac_f32_e32 v96, 0x3e9e377a, v83
	v_add_lshl_u32 v121, v72, v36, 3
	ds_write2_b64 v120, v[54:55], v[58:59] offset1:17
	ds_write2_b64 v120, v[64:65], v[38:39] offset0:34 offset1:51
	ds_write_b64 v120, v[56:57] offset:544
	ds_write2_b64 v121, v[66:67], v[70:71] offset1:17
	ds_write2_b64 v121, v[73:74], v[32:33] offset0:34 offset1:51
	ds_write_b64 v121, v[68:69] offset:544
	s_and_saveexec_b64 s[8:9], s[0:1]
	s_cbranch_execz .LBB0_11
; %bb.10:
	v_add_f32_e32 v32, v61, v35
	v_add_f32_e32 v32, v32, v42
	;; [unrolled: 1-line block ×7, first 2 shown]
	v_add_lshl_u32 v34, v72, v118, 3
	v_add_f32_e32 v32, v32, v43
	v_add_u32_e32 v35, 0x2400, v34
	ds_write2_b64 v35, v[32:33], v[62:63] offset0:123 offset1:140
	v_add_u32_e32 v32, 0x2800, v34
	ds_write2_b64 v32, v[97:98], v[95:96] offset0:29 offset1:46
	ds_write_b64 v34, v[93:94] offset:10744
.LBB0_11:
	s_or_b64 exec, exec, s[8:9]
	v_mov_b32_e32 v33, s3
	s_movk_i32 s8, 0x78
	v_mov_b32_e32 v32, s2
	v_mad_u64_u32 v[60:61], s[2:3], v113, s8, v[32:33]
	s_waitcnt lgkmcnt(0)
	s_barrier
	global_load_dwordx4 v[52:55], v[60:61], off offset:544
	global_load_dwordx4 v[44:47], v[60:61], off offset:560
	;; [unrolled: 1-line block ×7, first 2 shown]
	global_load_dwordx2 v[99:100], v[60:61], off offset:656
	ds_read2_b64 v[64:67], v116 offset1:85
	v_add_u32_e32 v68, 0x400, v116
	v_add_u32_e32 v72, 0x800, v116
	;; [unrolled: 1-line block ×6, first 2 shown]
	ds_read_b64 v[60:61], v116 offset:1360
	ds_read_b64 v[101:102], v116 offset:10200
	ds_read2_b64 v[68:71], v68 offset0:127 offset1:212
	ds_read2_b64 v[72:75], v72 offset0:169 offset1:254
	;; [unrolled: 1-line block ×6, first 2 shown]
	s_movk_i32 s17, 0x1000
	s_movk_i32 s16, 0x2000
	s_waitcnt vmcnt(7) lgkmcnt(8)
	v_mul_f32_e32 v104, v66, v53
	s_waitcnt vmcnt(6) lgkmcnt(5)
	v_mul_f32_e32 v109, v71, v47
	v_mul_f32_e32 v110, v70, v47
	s_waitcnt vmcnt(5) lgkmcnt(4)
	v_mul_f32_e32 v122, v74, v39
	s_waitcnt vmcnt(4) lgkmcnt(3)
	v_mul_f32_e32 v125, v79, v35
	v_mul_f32_e32 v126, v78, v35
	s_waitcnt vmcnt(2) lgkmcnt(1)
	v_mul_f32_e32 v133, v87, v51
	v_mul_f32_e32 v134, v86, v51
	;; [unrolled: 1-line block ×16, first 2 shown]
	s_waitcnt vmcnt(1) lgkmcnt(0)
	v_mul_f32_e32 v135, v89, v41
	v_mul_f32_e32 v136, v88, v41
	;; [unrolled: 1-line block ×4, first 2 shown]
	v_fmac_f32_e32 v104, v67, v52
	v_fma_f32 v67, v70, v46, -v109
	v_fmac_f32_e32 v110, v71, v46
	v_fmac_f32_e32 v122, v75, v38
	v_fma_f32 v71, v78, v34, -v125
	v_fmac_f32_e32 v126, v79, v34
	v_fma_f32 v75, v86, v50, -v133
	v_fmac_f32_e32 v134, v87, v50
	v_mul_f32_e32 v131, v85, v49
	v_mul_f32_e32 v132, v84, v49
	v_fma_f32 v66, v66, v52, -v103
	v_fma_f32 v60, v60, v54, -v105
	v_fmac_f32_e32 v106, v61, v54
	v_fma_f32 v61, v68, v44, -v107
	v_fmac_f32_e32 v108, v69, v44
	;; [unrolled: 2-line block ×3, first 2 shown]
	v_fma_f32 v69, v74, v38, -v117
	v_fma_f32 v70, v76, v32, -v123
	v_fmac_f32_e32 v124, v77, v32
	v_fma_f32 v72, v80, v56, -v127
	v_fmac_f32_e32 v128, v81, v56
	;; [unrolled: 2-line block ×5, first 2 shown]
	s_waitcnt vmcnt(0)
	v_mul_f32_e32 v78, v102, v100
	v_mul_f32_e32 v79, v101, v100
	v_sub_f32_e32 v71, v64, v71
	v_sub_f32_e32 v80, v65, v126
	;; [unrolled: 1-line block ×4, first 2 shown]
	v_fma_f32 v74, v84, v48, -v131
	v_fmac_f32_e32 v132, v85, v48
	v_fma_f32 v78, v101, v99, -v78
	v_fmac_f32_e32 v79, v102, v99
	v_fma_f32 v67, v67, 2.0, -v75
	v_fma_f32 v82, v110, 2.0, -v81
	v_sub_f32_e32 v73, v60, v73
	v_sub_f32_e32 v83, v106, v130
	;; [unrolled: 1-line block ×9, first 2 shown]
	v_add_f32_e32 v75, v80, v75
	v_fma_f32 v64, v64, 2.0, -v71
	v_fma_f32 v65, v65, 2.0, -v80
	;; [unrolled: 1-line block ×6, first 2 shown]
	v_sub_f32_e32 v74, v61, v74
	v_sub_f32_e32 v91, v108, v132
	;; [unrolled: 1-line block ×4, first 2 shown]
	v_fma_f32 v71, v71, 2.0, -v81
	v_fma_f32 v80, v80, 2.0, -v75
	v_sub_f32_e32 v85, v73, v85
	v_add_f32_e32 v77, v83, v77
	v_sub_f32_e32 v89, v72, v89
	v_add_f32_e32 v76, v87, v76
	v_fma_f32 v60, v60, 2.0, -v73
	v_fma_f32 v84, v106, 2.0, -v83
	v_fma_f32 v66, v66, 2.0, -v72
	v_fma_f32 v88, v104, 2.0, -v87
	v_fma_f32 v70, v70, 2.0, -v78
	v_fma_f32 v102, v124, 2.0, -v79
	v_fma_f32 v73, v73, 2.0, -v85
	v_fma_f32 v83, v83, 2.0, -v77
	v_fma_f32 v72, v72, 2.0, -v89
	v_fma_f32 v87, v87, 2.0, -v76
	v_sub_f32_e32 v79, v74, v79
	v_add_f32_e32 v78, v91, v78
	v_mov_b32_e32 v103, v71
	v_mov_b32_e32 v104, v80
	v_fma_f32 v61, v61, 2.0, -v74
	v_fma_f32 v101, v108, 2.0, -v91
	;; [unrolled: 1-line block ×4, first 2 shown]
	v_fmac_f32_e32 v103, 0xbf3504f3, v73
	v_fmac_f32_e32 v104, 0xbf3504f3, v83
	v_mov_b32_e32 v106, v75
	v_mov_b32_e32 v108, v72
	;; [unrolled: 1-line block ×3, first 2 shown]
	v_fmac_f32_e32 v103, 0xbf3504f3, v83
	v_fmac_f32_e32 v104, 0x3f3504f3, v73
	;; [unrolled: 1-line block ×5, first 2 shown]
	v_sub_f32_e32 v67, v64, v67
	v_sub_f32_e32 v82, v65, v82
	;; [unrolled: 1-line block ×4, first 2 shown]
	v_fma_f32 v83, v71, 2.0, -v103
	v_fma_f32 v80, v80, 2.0, -v104
	v_mov_b32_e32 v105, v81
	v_fmac_f32_e32 v106, 0x3f3504f3, v85
	v_fmac_f32_e32 v108, 0xbf3504f3, v91
	;; [unrolled: 1-line block ×3, first 2 shown]
	v_fma_f32 v60, v60, 2.0, -v69
	v_fma_f32 v84, v84, 2.0, -v86
	v_sub_f32_e32 v68, v66, v68
	v_sub_f32_e32 v90, v88, v90
	;; [unrolled: 1-line block ×5, first 2 shown]
	v_add_f32_e32 v69, v82, v69
	v_fmac_f32_e32 v105, 0x3f3504f3, v85
	v_fma_f32 v85, v75, 2.0, -v106
	v_fma_f32 v74, v72, 2.0, -v108
	;; [unrolled: 1-line block ×3, first 2 shown]
	v_mov_b32_e32 v72, v83
	v_mov_b32_e32 v73, v80
	v_fma_f32 v64, v64, 2.0, -v67
	v_fma_f32 v65, v65, 2.0, -v82
	;; [unrolled: 1-line block ×6, first 2 shown]
	v_fmac_f32_e32 v105, 0xbf3504f3, v77
	v_sub_f32_e32 v87, v68, v102
	v_add_f32_e32 v110, v90, v70
	v_mov_b32_e32 v112, v76
	v_fmac_f32_e32 v72, 0xbf6c835e, v74
	v_fmac_f32_e32 v73, 0xbf6c835e, v75
	v_fma_f32 v66, v66, 2.0, -v68
	v_fma_f32 v61, v61, 2.0, -v70
	v_sub_f32_e32 v84, v65, v84
	v_fma_f32 v77, v81, 2.0, -v105
	v_sub_f32_e32 v107, v88, v101
	v_fma_f32 v68, v68, 2.0, -v87
	v_fma_f32 v81, v90, 2.0, -v110
	v_mov_b32_e32 v111, v89
	v_fmac_f32_e32 v112, 0x3f3504f3, v78
	v_fmac_f32_e32 v72, 0xbec3ef15, v75
	;; [unrolled: 1-line block ×3, first 2 shown]
	v_mov_b32_e32 v74, v67
	v_mov_b32_e32 v75, v82
	v_sub_f32_e32 v60, v64, v60
	v_fma_f32 v65, v65, 2.0, -v84
	v_sub_f32_e32 v61, v66, v61
	v_fma_f32 v71, v88, 2.0, -v107
	v_fmac_f32_e32 v111, 0x3f3504f3, v79
	v_fmac_f32_e32 v112, 0x3f3504f3, v79
	;; [unrolled: 1-line block ×4, first 2 shown]
	v_fma_f32 v64, v64, 2.0, -v60
	v_fma_f32 v66, v66, 2.0, -v61
	v_fmac_f32_e32 v111, 0xbf3504f3, v78
	v_fma_f32 v76, v76, 2.0, -v112
	v_sub_f32_e32 v71, v65, v71
	v_fmac_f32_e32 v74, 0xbf3504f3, v81
	v_fmac_f32_e32 v75, 0x3f3504f3, v68
	v_mov_b32_e32 v81, v85
	v_fma_f32 v78, v89, 2.0, -v111
	v_sub_f32_e32 v70, v64, v66
	v_fma_f32 v102, v65, 2.0, -v71
	v_fma_f32 v65, v80, 2.0, -v73
	;; [unrolled: 1-line block ×4, first 2 shown]
	v_mov_b32_e32 v80, v77
	v_fmac_f32_e32 v81, 0xbec3ef15, v76
	v_sub_f32_e32 v82, v60, v107
	v_fma_f32 v101, v64, 2.0, -v70
	v_fma_f32 v64, v83, 2.0, -v72
	v_fmac_f32_e32 v80, 0xbec3ef15, v78
	v_fmac_f32_e32 v81, 0x3f6c835e, v78
	v_add_f32_e32 v83, v84, v61
	v_fma_f32 v78, v60, 2.0, -v82
	v_mov_b32_e32 v88, v103
	v_mov_b32_e32 v89, v104
	;; [unrolled: 1-line block ×6, first 2 shown]
	v_fmac_f32_e32 v88, 0x3ec3ef15, v108
	v_fmac_f32_e32 v89, 0x3ec3ef15, v109
	;; [unrolled: 1-line block ×13, first 2 shown]
	v_lshl_add_u32 v117, v113, 3, v115
	v_fma_f32 v76, v77, 2.0, -v80
	v_fma_f32 v77, v85, 2.0, -v81
	;; [unrolled: 1-line block ×9, first 2 shown]
	v_add_u32_e32 v103, 0x400, v117
	v_add_u32_e32 v104, 0x800, v117
	;; [unrolled: 1-line block ×6, first 2 shown]
	ds_write_b64 v117, v[101:102]
	ds_write2_b64 v117, v[64:65], v[66:67] offset0:85 offset1:170
	ds_write2_b64 v103, v[76:77], v[78:79] offset0:127 offset1:212
	;; [unrolled: 1-line block ×7, first 2 shown]
	ds_write_b64 v117, v[60:61] offset:10200
	s_waitcnt lgkmcnt(0)
	s_barrier
	s_and_saveexec_b64 s[8:9], vcc
	s_cbranch_execz .LBB0_13
; %bb.12:
	s_add_u32 s10, s12, 0x2a80
	s_addc_u32 s11, s13, 0
	global_load_dwordx2 v[109:110], v114, s[10:11]
	v_mov_b32_e32 v111, s11
	v_add_co_u32_e64 v122, s[2:3], s10, v114
	v_addc_co_u32_e64 v123, s[2:3], 0, v111, s[2:3]
	v_add_co_u32_e64 v111, s[2:3], s17, v122
	v_addc_co_u32_e64 v112, s[2:3], 0, v123, s[2:3]
	global_load_dwordx2 v[142:143], v114, s[10:11] offset:640
	global_load_dwordx2 v[144:145], v114, s[10:11] offset:1280
	;; [unrolled: 1-line block ×6, first 2 shown]
	global_load_dwordx2 v[154:155], v[111:112], off offset:384
	v_or_b32_e32 v124, 0x1400, v114
	global_load_dwordx2 v[156:157], v124, s[10:11]
	global_load_dwordx2 v[158:159], v[111:112], off offset:1664
	global_load_dwordx2 v[160:161], v[111:112], off offset:2304
	;; [unrolled: 1-line block ×3, first 2 shown]
	v_add_co_u32_e64 v122, s[2:3], s16, v122
	v_addc_co_u32_e64 v123, s[2:3], 0, v123, s[2:3]
	global_load_dwordx2 v[164:165], v[122:123], off offset:128
	global_load_dwordx2 v[166:167], v[122:123], off offset:768
	;; [unrolled: 1-line block ×4, first 2 shown]
	v_or_b32_e32 v122, 0x2800, v114
	global_load_dwordx2 v[172:173], v122, s[10:11]
	ds_read_b64 v[111:112], v117
	s_waitcnt vmcnt(16) lgkmcnt(0)
	v_mul_f32_e32 v122, v112, v110
	v_mul_f32_e32 v123, v111, v110
	v_fma_f32 v122, v111, v109, -v122
	v_fmac_f32_e32 v123, v112, v109
	ds_write_b64 v117, v[122:123]
	ds_read2_b64 v[109:112], v117 offset0:80 offset1:160
	ds_read2_b64 v[122:125], v103 offset0:112 offset1:192
	;; [unrolled: 1-line block ×6, first 2 shown]
	s_waitcnt vmcnt(15) lgkmcnt(5)
	v_mul_f32_e32 v174, v110, v143
	v_mul_f32_e32 v175, v109, v143
	s_waitcnt vmcnt(14)
	v_mul_f32_e32 v176, v112, v145
	v_mul_f32_e32 v143, v111, v145
	s_waitcnt vmcnt(13) lgkmcnt(4)
	v_mul_f32_e32 v177, v123, v147
	v_mul_f32_e32 v145, v122, v147
	s_waitcnt vmcnt(12)
	v_mul_f32_e32 v178, v125, v149
	v_mul_f32_e32 v147, v124, v149
	;; [unrolled: 6-line block ×5, first 2 shown]
	v_fma_f32 v174, v109, v142, -v174
	v_fmac_f32_e32 v175, v110, v142
	v_fma_f32 v142, v111, v144, -v176
	v_fmac_f32_e32 v143, v112, v144
	;; [unrolled: 2-line block ×10, first 2 shown]
	ds_write2_b64 v117, v[174:175], v[142:143] offset0:80 offset1:160
	ds_write2_b64 v103, v[144:145], v[146:147] offset0:112 offset1:192
	ds_write2_b64 v104, v[148:149], v[150:151] offset0:144 offset1:224
	ds_write2_b64 v106, v[152:153], v[154:155] offset0:48 offset1:128
	ds_write2_b64 v108, v[156:157], v[158:159] offset0:80 offset1:160
	ds_read2_b64 v[108:111], v105 offset0:16 offset1:96
	s_waitcnt vmcnt(5) lgkmcnt(6)
	v_mul_f32_e32 v161, v139, v163
	v_mul_f32_e32 v123, v138, v163
	s_waitcnt vmcnt(2)
	v_mul_f32_e32 v103, v141, v169
	v_mul_f32_e32 v104, v140, v169
	v_fma_f32 v122, v138, v162, -v161
	v_fmac_f32_e32 v123, v139, v162
	v_fma_f32 v103, v140, v168, -v103
	v_fmac_f32_e32 v104, v141, v168
	ds_write2_b64 v107, v[122:123], v[103:104] offset0:112 offset1:192
	s_waitcnt lgkmcnt(1)
	v_mul_f32_e32 v103, v109, v165
	v_mul_f32_e32 v104, v108, v165
	v_add_u32_e32 v124, 0x2400, v117
	v_fma_f32 v103, v108, v164, -v103
	v_fmac_f32_e32 v104, v109, v164
	ds_read2_b64 v[106:109], v124 offset0:48 offset1:128
	v_mul_f32_e32 v112, v111, v167
	v_mul_f32_e32 v123, v110, v167
	v_fma_f32 v122, v110, v166, -v112
	v_fmac_f32_e32 v123, v111, v166
	ds_write2_b64 v105, v[103:104], v[122:123] offset0:16 offset1:96
	s_waitcnt vmcnt(1) lgkmcnt(1)
	v_mul_f32_e32 v103, v107, v171
	v_fma_f32 v103, v106, v170, -v103
	v_mul_f32_e32 v104, v106, v171
	s_waitcnt vmcnt(0)
	v_mul_f32_e32 v105, v109, v173
	v_mul_f32_e32 v106, v108, v173
	v_fmac_f32_e32 v104, v107, v170
	v_fma_f32 v105, v108, v172, -v105
	v_fmac_f32_e32 v106, v109, v172
	ds_write2_b64 v124, v[103:104], v[105:106] offset0:48 offset1:128
.LBB0_13:
	s_or_b64 exec, exec, s[8:9]
	s_waitcnt lgkmcnt(0)
	s_barrier
	s_and_saveexec_b64 s[2:3], vcc
	s_cbranch_execz .LBB0_15
; %bb.14:
	v_add_u32_e32 v60, 0x400, v117
	ds_read_b64 v[101:102], v117
	ds_read2_b64 v[64:67], v117 offset0:80 offset1:160
	ds_read2_b64 v[76:79], v60 offset0:112 offset1:192
	v_add_u32_e32 v60, 0x800, v117
	ds_read2_b64 v[84:87], v60 offset0:144 offset1:224
	v_add_u32_e32 v60, 0x1000, v117
	ds_read2_b64 v[68:71], v60 offset0:48 offset1:128
	v_add_u32_e32 v60, 0x1400, v117
	ds_read2_b64 v[72:75], v60 offset0:80 offset1:160
	v_add_u32_e32 v60, 0x1800, v117
	ds_read2_b64 v[80:83], v60 offset0:112 offset1:192
	v_add_u32_e32 v60, 0x2000, v117
	ds_read2_b64 v[88:91], v60 offset0:16 offset1:96
	v_add_u32_e32 v60, 0x2400, v117
	ds_read2_b64 v[60:63], v60 offset0:48 offset1:128
.LBB0_15:
	s_or_b64 exec, exec, s[2:3]
	s_waitcnt lgkmcnt(0)
	v_sub_f32_e32 v218, v65, v63
	v_add_f32_e32 v132, v62, v64
	v_add_f32_e32 v138, v63, v65
	s_mov_b32 s8, 0x3f6eb680
	v_mul_f32_e32 v109, 0xbeb8f4ab, v218
	v_sub_f32_e32 v219, v67, v61
	v_mul_f32_e32 v110, 0x3f6eb680, v138
	v_fma_f32 v103, v132, s8, -v109
	s_mov_b32 s9, 0x3f3d2fb0
	v_add_f32_e32 v137, v60, v66
	v_add_f32_e32 v144, v61, v67
	v_mul_f32_e32 v111, 0xbf2c7751, v219
	v_sub_f32_e32 v220, v64, v62
	v_add_f32_e32 v103, v101, v103
	v_mov_b32_e32 v104, v110
	v_mul_f32_e32 v125, 0x3f3d2fb0, v144
	v_fma_f32 v107, v137, s9, -v111
	v_fmac_f32_e32 v104, 0xbeb8f4ab, v220
	v_mul_f32_e32 v127, 0xbf2c7751, v218
	v_sub_f32_e32 v222, v66, v60
	v_add_f32_e32 v103, v107, v103
	v_mov_b32_e32 v107, v125
	v_add_f32_e32 v104, v102, v104
	v_mul_f32_e32 v130, 0x3f3d2fb0, v138
	v_fma_f32 v105, v132, s9, -v127
	v_fmac_f32_e32 v107, 0xbf2c7751, v222
	s_mov_b32 s10, 0x3dbcf732
	v_mul_f32_e32 v131, 0xbf7ee86f, v219
	v_add_f32_e32 v105, v101, v105
	v_mov_b32_e32 v106, v130
	v_add_f32_e32 v104, v107, v104
	v_mul_f32_e32 v135, 0x3dbcf732, v144
	v_fma_f32 v107, v137, s10, -v131
	v_fmac_f32_e32 v106, 0xbf2c7751, v220
	v_add_f32_e32 v105, v107, v105
	v_mov_b32_e32 v107, v135
	v_sub_f32_e32 v221, v77, v91
	v_add_f32_e32 v106, v102, v106
	v_fmac_f32_e32 v107, 0xbf7ee86f, v222
	v_add_f32_e32 v143, v90, v76
	v_add_f32_e32 v150, v91, v77
	s_mov_b32 s11, 0x3ee437d1
	v_mul_f32_e32 v112, 0xbf65296c, v221
	v_add_f32_e32 v106, v107, v106
	v_mul_f32_e32 v128, 0x3ee437d1, v150
	v_fma_f32 v107, v143, s11, -v112
	v_sub_f32_e32 v224, v76, v90
	v_add_f32_e32 v103, v107, v103
	v_mov_b32_e32 v107, v128
	v_fmac_f32_e32 v107, 0xbf65296c, v224
	s_mov_b32 s16, 0xbf1a4643
	v_mul_f32_e32 v136, 0xbf4c4adb, v221
	v_add_f32_e32 v104, v107, v104
	v_mul_f32_e32 v141, 0xbf1a4643, v150
	v_fma_f32 v107, v143, s16, -v136
	v_add_f32_e32 v105, v107, v105
	v_mov_b32_e32 v107, v141
	v_sub_f32_e32 v223, v79, v89
	v_fmac_f32_e32 v107, 0xbf4c4adb, v224
	v_add_f32_e32 v149, v88, v78
	v_add_f32_e32 v157, v89, v79
	v_mul_f32_e32 v129, 0xbf7ee86f, v223
	v_add_f32_e32 v106, v107, v106
	v_mul_f32_e32 v133, 0x3dbcf732, v157
	v_fma_f32 v107, v149, s10, -v129
	v_sub_f32_e32 v226, v78, v88
	v_add_f32_e32 v103, v107, v103
	v_mov_b32_e32 v107, v133
	v_fmac_f32_e32 v107, 0xbf7ee86f, v226
	s_mov_b32 s17, 0xbf7ba420
	v_mul_f32_e32 v142, 0xbe3c28d5, v223
	v_add_f32_e32 v104, v107, v104
	v_mul_f32_e32 v147, 0xbf7ba420, v157
	v_fma_f32 v107, v149, s17, -v142
	v_add_f32_e32 v105, v107, v105
	v_mov_b32_e32 v107, v147
	v_sub_f32_e32 v225, v85, v83
	v_fmac_f32_e32 v107, 0xbe3c28d5, v226
	v_add_f32_e32 v155, v82, v84
	v_add_f32_e32 v161, v83, v85
	s_mov_b32 s18, 0xbe8c1d8e
	v_mul_f32_e32 v134, 0xbf763a35, v225
	v_add_f32_e32 v106, v107, v106
	v_mul_f32_e32 v139, 0xbe8c1d8e, v161
	v_fma_f32 v107, v155, s18, -v134
	v_sub_f32_e32 v228, v84, v82
	v_add_f32_e32 v103, v107, v103
	v_mov_b32_e32 v107, v139
	v_fmac_f32_e32 v107, 0xbf763a35, v228
	s_mov_b32 s19, 0xbf59a7d5
	v_mul_f32_e32 v148, 0x3f06c442, v225
	v_add_f32_e32 v104, v107, v104
	v_mul_f32_e32 v154, 0xbf59a7d5, v161
	v_fma_f32 v107, v155, s19, -v148
	v_add_f32_e32 v105, v107, v105
	v_mov_b32_e32 v107, v154
	v_sub_f32_e32 v227, v87, v81
	v_fmac_f32_e32 v107, 0x3f06c442, v228
	v_add_f32_e32 v160, v80, v86
	v_add_f32_e32 v173, v81, v87
	v_mul_f32_e32 v140, 0xbf4c4adb, v227
	v_add_f32_e32 v106, v107, v106
	v_mul_f32_e32 v146, 0xbf1a4643, v173
	v_fma_f32 v107, v160, s16, -v140
	v_sub_f32_e32 v230, v86, v80
	v_add_f32_e32 v103, v107, v103
	v_mov_b32_e32 v107, v146
	v_fmac_f32_e32 v107, 0xbf4c4adb, v230
	v_mul_f32_e32 v153, 0x3f763a35, v227
	v_add_f32_e32 v104, v107, v104
	v_mul_f32_e32 v159, 0xbe8c1d8e, v173
	v_fma_f32 v107, v160, s18, -v153
	v_add_f32_e32 v105, v107, v105
	v_mov_b32_e32 v107, v159
	v_sub_f32_e32 v229, v69, v75
	v_fmac_f32_e32 v107, 0x3f763a35, v230
	v_add_f32_e32 v169, v74, v68
	v_add_f32_e32 v184, v75, v69
	v_mul_f32_e32 v145, 0xbf06c442, v229
	v_add_f32_e32 v106, v107, v106
	v_mul_f32_e32 v152, 0xbf59a7d5, v184
	v_fma_f32 v107, v169, s19, -v145
	v_sub_f32_e32 v232, v68, v74
	v_add_f32_e32 v103, v107, v103
	v_mov_b32_e32 v107, v152
	v_fmac_f32_e32 v107, 0xbf06c442, v232
	;; [unrolled: 18-line block ×3, first 2 shown]
	v_mul_f32_e32 v176, 0x3f6eb680, v192
	v_add_f32_e32 v106, v103, v104
	v_mul_f32_e32 v164, 0x3eb8f4ab, v231
	v_mov_b32_e32 v104, v176
	v_fma_f32 v103, v179, s8, -v164
	v_fmac_f32_e32 v104, 0x3eb8f4ab, v233
	v_add_f32_e32 v103, v103, v107
	v_add_f32_e32 v104, v104, v108
	s_barrier
	s_and_saveexec_b64 s[2:3], vcc
	s_cbranch_execz .LBB0_17
; %bb.16:
	v_mul_f32_e32 v107, 0x3f6eb680, v132
	buffer_store_dword v107, off, s[20:23], 0 offset:16 ; 4-byte Folded Spill
	v_mul_f32_e32 v107, 0xbeb8f4ab, v220
	buffer_store_dword v107, off, s[20:23], 0 offset:48 ; 4-byte Folded Spill
	;; [unrolled: 2-line block ×33, first 2 shown]
	v_fmac_f32_e32 v107, 0x3ee437d1, v138
	v_mul_f32_e32 v108, 0xbf4c4adb, v222
	v_add_f32_e32 v107, v102, v107
	buffer_store_dword v108, off, s[20:23], 0 offset:160 ; 4-byte Folded Spill
	v_fmac_f32_e32 v108, 0xbf1a4643, v144
	v_add_f32_e32 v107, v108, v107
	v_mul_f32_e32 v108, 0x3e3c28d5, v224
	buffer_store_dword v108, off, s[20:23], 0 offset:164 ; 4-byte Folded Spill
	v_fmac_f32_e32 v108, 0xbf7ba420, v150
	v_add_f32_e32 v107, v108, v107
	v_mul_f32_e32 v108, 0x3f763a35, v226
	;; [unrolled: 4-line block ×6, first 2 shown]
	buffer_store_dword v108, off, s[20:23], 0 offset:184 ; 4-byte Folded Spill
	v_fmac_f32_e32 v108, 0xbf59a7d5, v192
	v_mul_f32_e32 v210, 0xbf65296c, v218
	v_add_f32_e32 v108, v108, v107
	v_fma_f32 v107, v132, s11, -v210
	v_mul_f32_e32 v211, 0xbf4c4adb, v219
	v_add_f32_e32 v107, v101, v107
	buffer_store_dword v109, off, s[20:23], 0 offset:144 ; 4-byte Folded Spill
	v_fma_f32 v109, v137, s16, -v211
	v_mul_f32_e32 v212, 0x3e3c28d5, v221
	v_add_f32_e32 v107, v109, v107
	v_fma_f32 v109, v143, s17, -v212
	v_mul_f32_e32 v213, 0x3f763a35, v223
	v_add_f32_e32 v107, v109, v107
	;; [unrolled: 3-line block ×7, first 2 shown]
	v_mov_b32_e32 v109, v238
	v_mul_f32_e32 v239, 0xbe3c28d5, v222
	buffer_store_dword v107, off, s[20:23], 0 offset:8 ; 4-byte Folded Spill
	s_nop 0
	buffer_store_dword v108, off, s[20:23], 0 offset:12 ; 4-byte Folded Spill
	v_fmac_f32_e32 v109, 0x3dbcf732, v138
	buffer_store_dword v110, off, s[20:23], 0 offset:148 ; 4-byte Folded Spill
	v_mov_b32_e32 v110, v239
	v_add_f32_e32 v109, v102, v109
	v_fmac_f32_e32 v110, 0xbf7ba420, v144
	v_mul_f32_e32 v240, 0x3f763a35, v224
	v_add_f32_e32 v109, v110, v109
	v_mov_b32_e32 v110, v240
	v_fmac_f32_e32 v110, 0xbe8c1d8e, v150
	v_mul_f32_e32 v241, 0x3eb8f4ab, v226
	v_add_f32_e32 v109, v110, v109
	v_mov_b32_e32 v110, v241
	;; [unrolled: 4-line block ×6, first 2 shown]
	v_fmac_f32_e32 v110, 0x3f3d2fb0, v192
	v_mul_f32_e32 v246, 0xbf7ee86f, v218
	v_add_f32_e32 v110, v110, v109
	v_fma_f32 v109, v132, s10, -v246
	v_mul_f32_e32 v247, 0xbe3c28d5, v219
	v_add_f32_e32 v109, v101, v109
	buffer_store_dword v111, off, s[20:23], 0 offset:152 ; 4-byte Folded Spill
	v_fma_f32 v111, v137, s17, -v247
	v_mul_f32_e32 v248, 0x3f763a35, v221
	v_add_f32_e32 v109, v111, v109
	v_fma_f32 v111, v143, s18, -v248
	v_mul_f32_e32 v249, 0x3eb8f4ab, v223
	v_add_f32_e32 v109, v111, v109
	;; [unrolled: 3-line block ×7, first 2 shown]
	v_mov_b32_e32 v111, v254
	v_mul_f32_e32 v255, 0x3f06c442, v222
	v_fmac_f32_e32 v111, 0xbe8c1d8e, v138
	buffer_store_dword v112, off, s[20:23], 0 offset:188 ; 4-byte Folded Spill
	v_mov_b32_e32 v112, v255
	v_add_f32_e32 v111, v102, v111
	v_fmac_f32_e32 v112, 0xbf59a7d5, v144
	buffer_store_dword v115, off, s[20:23], 0 ; 4-byte Folded Spill
	v_mul_f32_e32 v115, 0x3f2c7751, v224
	v_add_f32_e32 v111, v112, v111
	v_mov_b32_e32 v112, v115
	v_fmac_f32_e32 v112, 0x3f3d2fb0, v150
	buffer_store_dword v118, off, s[20:23], 0 offset:4 ; 4-byte Folded Spill
	v_mul_f32_e32 v118, 0xbf65296c, v226
	v_add_f32_e32 v111, v112, v111
	v_mov_b32_e32 v112, v118
	v_fmac_f32_e32 v112, 0x3ee437d1, v157
	v_mul_f32_e32 v114, 0xbe3c28d5, v228
	v_add_f32_e32 v111, v112, v111
	v_mov_b32_e32 v112, v114
	v_fmac_f32_e32 v112, 0xbf7ba420, v161
	v_mul_f32_e32 v208, 0x3f7ee86f, v230
	v_add_f32_e32 v111, v112, v111
	v_mov_b32_e32 v112, v208
	v_fmac_f32_e32 v112, 0x3dbcf732, v173
	v_mul_f32_e32 v209, 0xbeb8f4ab, v232
	v_add_f32_e32 v111, v112, v111
	v_mov_b32_e32 v112, v209
	v_mul_f32_e32 v107, 0xbf4c4adb, v233
	v_fmac_f32_e32 v112, 0x3f6eb680, v184
	v_mov_b32_e32 v108, v107
	v_add_f32_e32 v111, v112, v111
	v_fmac_f32_e32 v108, 0xbf1a4643, v192
	v_add_f32_e32 v112, v108, v111
	v_mul_f32_e32 v108, 0xbf763a35, v218
	v_fma_f32 v111, v132, s18, -v108
	v_mul_f32_e32 v122, 0x3f06c442, v219
	v_add_f32_e32 v111, v101, v111
	v_fma_f32 v234, v137, s19, -v122
	v_mul_f32_e32 v168, 0x3f2c7751, v221
	v_add_f32_e32 v111, v234, v111
	;; [unrolled: 3-line block ×8, first 2 shown]
	v_mov_b32_e32 v234, v177
	v_mul_f32_e32 v178, 0x3f763a35, v222
	v_fmac_f32_e32 v234, 0xbf1a4643, v138
	v_mov_b32_e32 v235, v178
	v_add_f32_e32 v234, v102, v234
	v_fmac_f32_e32 v235, 0xbe8c1d8e, v144
	v_mul_f32_e32 v180, 0xbeb8f4ab, v224
	v_add_f32_e32 v234, v235, v234
	v_mov_b32_e32 v235, v180
	v_fmac_f32_e32 v235, 0x3f6eb680, v150
	v_mul_f32_e32 v181, 0xbf06c442, v226
	v_add_f32_e32 v234, v235, v234
	v_mov_b32_e32 v235, v181
	;; [unrolled: 4-line block ×6, first 2 shown]
	v_fmac_f32_e32 v235, 0x3ee437d1, v192
	v_mul_f32_e32 v187, 0xbf4c4adb, v218
	v_add_f32_e32 v235, v235, v234
	v_fma_f32 v234, v132, s16, -v187
	v_mul_f32_e32 v188, 0x3f763a35, v219
	v_add_f32_e32 v234, v101, v234
	v_fma_f32 v236, v137, s18, -v188
	;; [unrolled: 3-line block ×8, first 2 shown]
	v_mul_f32_e32 v196, 0xbf06c442, v220
	v_add_f32_e32 v234, v236, v234
	v_mov_b32_e32 v236, v196
	v_mul_f32_e32 v197, 0x3f65296c, v222
	v_fmac_f32_e32 v236, 0xbf59a7d5, v138
	v_mov_b32_e32 v237, v197
	v_add_f32_e32 v236, v102, v236
	v_fmac_f32_e32 v237, 0x3ee437d1, v144
	v_mul_f32_e32 v198, 0xbf7ee86f, v224
	v_add_f32_e32 v236, v237, v236
	v_mov_b32_e32 v237, v198
	v_fmac_f32_e32 v237, 0x3dbcf732, v150
	v_mul_f32_e32 v199, 0x3f4c4adb, v226
	v_add_f32_e32 v236, v237, v236
	v_mov_b32_e32 v237, v199
	;; [unrolled: 4-line block ×6, first 2 shown]
	v_fmac_f32_e32 v237, 0xbe8c1d8e, v192
	v_mul_f32_e32 v204, 0xbf06c442, v218
	v_add_f32_e32 v237, v237, v236
	v_fma_f32 v236, v132, s19, -v204
	v_mul_f32_e32 v205, 0x3f65296c, v219
	v_add_f32_e32 v236, v101, v236
	v_fma_f32 v207, v137, s11, -v205
	;; [unrolled: 3-line block ×5, first 2 shown]
	v_add_f32_e32 v163, v163, v207
	v_mul_f32_e32 v207, 0xbe3c28d5, v227
	v_fma_f32 v236, v160, s17, -v207
	v_mul_f32_e32 v162, 0x3f2c7751, v229
	v_add_f32_e32 v163, v236, v163
	v_fma_f32 v236, v169, s9, -v162
	v_mov_b32_e32 v124, v119
	v_mul_f32_e32 v119, 0xbf763a35, v231
	v_add_f32_e32 v163, v236, v163
	v_fma_f32 v236, v179, s18, -v119
	v_add_f32_e32 v236, v236, v163
	v_mul_f32_e32 v163, 0xbe3c28d5, v220
	v_mov_b32_e32 v220, v163
	v_mov_b32_e32 v123, v120
	v_mul_f32_e32 v120, 0x3eb8f4ab, v222
	v_fmac_f32_e32 v220, 0xbf7ba420, v138
	v_mov_b32_e32 v222, v120
	v_add_f32_e32 v220, v102, v220
	v_fmac_f32_e32 v222, 0x3f6eb680, v144
	v_add_f32_e32 v220, v222, v220
	v_mul_f32_e32 v222, 0xbf06c442, v224
	v_mov_b32_e32 v224, v222
	v_fmac_f32_e32 v224, 0xbf59a7d5, v150
	v_add_f32_e32 v220, v224, v220
	v_mul_f32_e32 v224, 0x3f2c7751, v226
	v_mov_b32_e32 v226, v224
	;; [unrolled: 4-line block ×4, first 2 shown]
	v_fmac_f32_e32 v230, 0x3ee437d1, v173
	v_fma_f32 v163, v138, s17, -v163
	v_add_f32_e32 v220, v230, v220
	v_mul_f32_e32 v230, 0xbf763a35, v232
	v_add_f32_e32 v163, v102, v163
	v_fma_f32 v120, v144, s8, -v120
	v_mov_b32_e32 v232, v230
	v_add_f32_e32 v120, v120, v163
	v_fma_f32 v163, v150, s19, -v222
	v_fmac_f32_e32 v232, 0xbe8c1d8e, v184
	v_add_f32_e32 v120, v163, v120
	v_fma_f32 v163, v157, s9, -v224
	v_add_f32_e32 v220, v232, v220
	v_mul_f32_e32 v232, 0x3f7ee86f, v233
	v_add_f32_e32 v120, v163, v120
	v_fma_f32 v163, v161, s16, -v226
	v_mov_b32_e32 v233, v232
	v_add_f32_e32 v120, v163, v120
	v_fma_f32 v163, v173, s11, -v228
	v_fmac_f32_e32 v233, 0x3dbcf732, v192
	v_mul_f32_e32 v218, 0xbe3c28d5, v218
	v_add_f32_e32 v120, v163, v120
	v_fma_f32 v163, v184, s18, -v230
	v_add_f32_e32 v220, v233, v220
	v_fma_f32 v233, v132, s17, -v218
	v_mov_b32_e32 v126, v113
	v_mov_b32_e32 v113, v121
	v_mul_f32_e32 v121, 0x3eb8f4ab, v219
	v_add_f32_e32 v120, v163, v120
	v_fma_f32 v163, v192, s10, -v232
	v_fmac_f32_e32 v218, 0xbf7ba420, v132
	v_add_f32_e32 v233, v101, v233
	v_fma_f32 v219, v137, s8, -v121
	v_mul_f32_e32 v221, 0xbf06c442, v221
	v_add_f32_e32 v222, v163, v120
	v_add_f32_e32 v120, v101, v218
	v_fmac_f32_e32 v121, 0x3f6eb680, v137
	v_add_f32_e32 v219, v219, v233
	v_fma_f32 v233, v143, s19, -v221
	v_mul_f32_e32 v223, 0x3f2c7751, v223
	v_add_f32_e32 v120, v121, v120
	v_fmac_f32_e32 v221, 0xbf59a7d5, v143
	v_add_f32_e32 v219, v233, v219
	v_fma_f32 v233, v149, s9, -v223
	v_mul_f32_e32 v225, 0xbf4c4adb, v225
	;; [unrolled: 5-line block ×5, first 2 shown]
	v_add_f32_e32 v120, v227, v120
	v_fmac_f32_e32 v229, 0xbe8c1d8e, v169
	v_add_f32_e32 v219, v233, v219
	v_fma_f32 v233, v179, s10, -v231
	v_add_f32_e32 v120, v229, v120
	v_fmac_f32_e32 v231, 0x3dbcf732, v179
	v_add_f32_e32 v221, v231, v120
	v_fma_f32 v120, v138, s19, -v196
	v_add_f32_e32 v120, v102, v120
	v_fma_f32 v121, v144, s11, -v197
	v_add_f32_e32 v120, v121, v120
	v_fma_f32 v121, v150, s10, -v198
	v_add_f32_e32 v120, v121, v120
	v_fma_f32 v121, v157, s16, -v199
	v_add_f32_e32 v120, v121, v120
	v_fma_f32 v121, v161, s8, -v200
	v_add_f32_e32 v120, v121, v120
	v_fma_f32 v121, v173, s17, -v201
	v_add_f32_e32 v120, v121, v120
	v_fma_f32 v121, v184, s9, -v202
	v_add_f32_e32 v120, v121, v120
	v_fma_f32 v121, v192, s18, -v203
	v_fmac_f32_e32 v204, 0xbf59a7d5, v132
	v_add_f32_e32 v224, v121, v120
	v_add_f32_e32 v120, v101, v204
	v_fmac_f32_e32 v205, 0x3ee437d1, v137
	v_add_f32_e32 v120, v205, v120
	v_fmac_f32_e32 v206, 0x3dbcf732, v143
	v_add_f32_e32 v120, v206, v120
	v_fmac_f32_e32 v166, 0xbf1a4643, v149
	v_add_f32_e32 v120, v166, v120
	v_fmac_f32_e32 v167, 0x3f6eb680, v155
	v_add_f32_e32 v120, v167, v120
	v_fmac_f32_e32 v207, 0xbf7ba420, v160
	v_add_f32_e32 v120, v207, v120
	v_fmac_f32_e32 v162, 0x3f3d2fb0, v169
	v_add_f32_e32 v120, v162, v120
	v_fmac_f32_e32 v119, 0xbe8c1d8e, v179
	v_add_f32_e32 v223, v119, v120
	v_fma_f32 v119, v138, s16, -v177
	v_add_f32_e32 v119, v102, v119
	v_fma_f32 v120, v144, s18, -v178
	v_add_f32_e32 v119, v120, v119
	v_fma_f32 v120, v150, s8, -v180
	v_add_f32_e32 v119, v120, v119
	v_fma_f32 v120, v157, s19, -v181
	v_add_f32_e32 v119, v120, v119
	v_fma_f32 v120, v161, s10, -v182
	v_add_f32_e32 v119, v120, v119
	v_fma_f32 v120, v173, s9, -v183
	v_add_f32_e32 v119, v120, v119
	v_fma_f32 v120, v184, s17, -v185
	v_add_f32_e32 v119, v120, v119
	v_fma_f32 v120, v192, s11, -v186
	v_fmac_f32_e32 v187, 0xbf1a4643, v132
	v_add_f32_e32 v226, v120, v119
	v_add_f32_e32 v119, v101, v187
	v_fmac_f32_e32 v188, 0xbe8c1d8e, v137
	v_add_f32_e32 v119, v188, v119
	v_fmac_f32_e32 v189, 0x3f6eb680, v143
	v_add_f32_e32 v119, v189, v119
	v_fmac_f32_e32 v190, 0xbf59a7d5, v149
	v_add_f32_e32 v119, v190, v119
	v_fmac_f32_e32 v191, 0x3dbcf732, v155
	v_add_f32_e32 v119, v191, v119
	v_fmac_f32_e32 v193, 0x3f3d2fb0, v160
	v_add_f32_e32 v119, v193, v119
	v_fmac_f32_e32 v194, 0xbf7ba420, v169
	;; [unrolled: 32-line block ×4, first 2 shown]
	v_add_f32_e32 v107, v252, v107
	v_fmac_f32_e32 v253, 0x3f3d2fb0, v179
	v_add_f32_e32 v229, v253, v107
	buffer_load_dword v107, off, s[20:23], 0 offset:156 ; 4-byte Folded Reload
	buffer_load_dword v108, off, s[20:23], 0 offset:160 ; 4-byte Folded Reload
	v_fmac_f32_e32 v210, 0x3ee437d1, v132
	v_fmac_f32_e32 v211, 0xbf1a4643, v137
	;; [unrolled: 1-line block ×8, first 2 shown]
	buffer_load_dword v118, off, s[20:23], 0 offset:4 ; 4-byte Folded Reload
	v_mov_b32_e32 v120, v123
	v_add_f32_e32 v65, v65, v102
	v_add_f32_e32 v65, v67, v65
	;; [unrolled: 1-line block ×30, first 2 shown]
	v_mov_b32_e32 v121, v113
	v_mov_b32_e32 v113, v126
	v_add_f32_e32 v60, v60, v63
	v_add_f32_e32 v60, v62, v60
	v_mul_lo_u16_e32 v62, 17, v113
	v_add_f32_e32 v219, v233, v219
	v_mov_b32_e32 v119, v124
	v_lshlrev_b32_e32 v114, 3, v113
	s_waitcnt vmcnt(2)
	v_fma_f32 v107, v138, s11, -v107
	v_add_f32_e32 v107, v102, v107
	s_waitcnt vmcnt(1)
	v_fma_f32 v108, v144, s16, -v108
	v_add_f32_e32 v107, v108, v107
	buffer_load_dword v108, off, s[20:23], 0 offset:164 ; 4-byte Folded Reload
	s_waitcnt vmcnt(0)
	v_fma_f32 v108, v150, s17, -v108
	v_add_f32_e32 v107, v108, v107
	buffer_load_dword v108, off, s[20:23], 0 offset:168 ; 4-byte Folded Reload
	;; [unrolled: 4-line block ×6, first 2 shown]
	s_waitcnt vmcnt(0)
	v_fma_f32 v108, v192, s19, -v108
	v_add_f32_e32 v138, v108, v107
	v_add_f32_e32 v107, v101, v210
	;; [unrolled: 1-line block ×9, first 2 shown]
	buffer_load_dword v107, off, s[20:23], 0 offset:112 ; 4-byte Folded Reload
	buffer_load_dword v108, off, s[20:23], 0 offset:116 ; 4-byte Folded Reload
	s_waitcnt vmcnt(1)
	v_sub_f32_e32 v107, v130, v107
	v_add_f32_e32 v107, v102, v107
	s_waitcnt vmcnt(0)
	v_sub_f32_e32 v108, v135, v108
	v_add_f32_e32 v107, v108, v107
	buffer_load_dword v108, off, s[20:23], 0 offset:120 ; 4-byte Folded Reload
	s_waitcnt vmcnt(0)
	v_sub_f32_e32 v108, v141, v108
	v_add_f32_e32 v107, v108, v107
	buffer_load_dword v108, off, s[20:23], 0 offset:124 ; 4-byte Folded Reload
	;; [unrolled: 4-line block ×7, first 2 shown]
	buffer_load_dword v108, off, s[20:23], 0 offset:84 ; 4-byte Folded Reload
	buffer_load_dword v115, off, s[20:23], 0 ; 4-byte Folded Reload
	s_waitcnt vmcnt(2)
	v_add_f32_e32 v107, v107, v127
	v_add_f32_e32 v107, v101, v107
	s_waitcnt vmcnt(1)
	v_add_f32_e32 v108, v108, v131
	v_add_f32_e32 v107, v108, v107
	buffer_load_dword v108, off, s[20:23], 0 offset:88 ; 4-byte Folded Reload
	s_waitcnt vmcnt(1)
	v_lshl_add_u32 v62, v62, 3, v115
	s_waitcnt vmcnt(0)
	v_add_f32_e32 v108, v108, v136
	v_add_f32_e32 v107, v108, v107
	buffer_load_dword v108, off, s[20:23], 0 offset:92 ; 4-byte Folded Reload
	s_waitcnt vmcnt(0)
	v_add_f32_e32 v108, v108, v142
	v_add_f32_e32 v107, v108, v107
	buffer_load_dword v108, off, s[20:23], 0 offset:96 ; 4-byte Folded Reload
	;; [unrolled: 4-line block ×6, first 2 shown]
	buffer_load_dword v108, off, s[20:23], 0 offset:148 ; 4-byte Folded Reload
	s_waitcnt vmcnt(0)
	v_sub_f32_e32 v107, v108, v107
	buffer_load_dword v108, off, s[20:23], 0 offset:52 ; 4-byte Folded Reload
	v_add_f32_e32 v107, v102, v107
	s_waitcnt vmcnt(0)
	v_sub_f32_e32 v108, v125, v108
	v_add_f32_e32 v107, v108, v107
	buffer_load_dword v108, off, s[20:23], 0 offset:56 ; 4-byte Folded Reload
	s_waitcnt vmcnt(0)
	v_sub_f32_e32 v108, v128, v108
	v_add_f32_e32 v107, v108, v107
	buffer_load_dword v108, off, s[20:23], 0 offset:60 ; 4-byte Folded Reload
	;; [unrolled: 4-line block ×7, first 2 shown]
	buffer_load_dword v108, off, s[20:23], 0 offset:144 ; 4-byte Folded Reload
	s_waitcnt vmcnt(0)
	v_add_f32_e32 v107, v107, v108
	buffer_load_dword v108, off, s[20:23], 0 offset:20 ; 4-byte Folded Reload
	buffer_load_dword v122, off, s[20:23], 0 offset:152 ; 4-byte Folded Reload
	v_add_f32_e32 v107, v101, v107
	s_waitcnt vmcnt(0)
	v_add_f32_e32 v108, v108, v122
	v_add_f32_e32 v107, v108, v107
	buffer_load_dword v108, off, s[20:23], 0 offset:24 ; 4-byte Folded Reload
	buffer_load_dword v122, off, s[20:23], 0 offset:188 ; 4-byte Folded Reload
	s_waitcnt vmcnt(0)
	v_add_f32_e32 v108, v108, v122
	v_add_f32_e32 v107, v108, v107
	buffer_load_dword v108, off, s[20:23], 0 offset:28 ; 4-byte Folded Reload
	s_waitcnt vmcnt(0)
	v_add_f32_e32 v108, v108, v129
	v_add_f32_e32 v107, v108, v107
	;; [unrolled: 4-line block ×6, first 2 shown]
	ds_write2_b64 v62, v[60:61], v[122:123] offset1:1
	ds_write2_b64 v62, v[131:132], v[137:138] offset0:2 offset1:3
	ds_write2_b64 v62, v[229:230], v[227:228] offset0:4 offset1:5
	;; [unrolled: 1-line block ×6, first 2 shown]
	buffer_load_dword v60, off, s[20:23], 0 offset:8 ; 4-byte Folded Reload
	buffer_load_dword v61, off, s[20:23], 0 offset:12 ; 4-byte Folded Reload
	s_waitcnt vmcnt(0)
	ds_write2_b64 v62, v[60:61], v[103:104] offset0:14 offset1:15
	ds_write_b64 v62, v[105:106] offset:128
.LBB0_17:
	s_or_b64 exec, exec, s[2:3]
	v_add_u32_e32 v72, 0x2000, v116
	s_waitcnt lgkmcnt(0)
	s_barrier
	v_add_u32_e32 v68, 0x1000, v116
	ds_read2_b64 v[80:83], v72 offset0:64 offset1:149
	v_add_u32_e32 v72, 0x800, v116
	v_add_u32_e32 v60, 0x400, v116
	ds_read2_b64 v[84:87], v68 offset0:32 offset1:117
	v_add_u32_e32 v68, 0x1400, v116
	ds_read2_b64 v[76:79], v72 offset0:101 offset1:186
	v_add_u32_e32 v72, 0x1800, v116
	ds_read2_b64 v[64:67], v116 offset1:85
	ds_read2_b64 v[60:63], v60 offset0:42 offset1:144
	ds_read2_b64 v[68:71], v68 offset0:74 offset1:176
	;; [unrolled: 1-line block ×3, first 2 shown]
	ds_read_b64 v[88:89], v116 offset:10064
	s_and_saveexec_b64 s[2:3], s[0:1]
	s_cbranch_execz .LBB0_19
; %bb.18:
	ds_read_b64 v[103:104], v116 offset:2040
	ds_read_b64 v[105:106], v116 offset:4216
	ds_read_b64 v[97:98], v116 offset:6392
	ds_read_b64 v[95:96], v116 offset:8568
	ds_read_b64 v[93:94], v116 offset:10744
.LBB0_19:
	s_or_b64 exec, exec, s[2:3]
	s_waitcnt lgkmcnt(3)
	v_mul_f32_e32 v90, v13, v63
	v_mul_f32_e32 v13, v13, v62
	v_fmac_f32_e32 v90, v12, v62
	v_fma_f32 v62, v12, v63, -v13
	v_mul_f32_e32 v63, v15, v85
	v_mul_f32_e32 v12, v15, v84
	s_waitcnt lgkmcnt(2)
	v_mul_f32_e32 v15, v9, v71
	v_mul_f32_e32 v9, v9, v70
	v_fmac_f32_e32 v15, v8, v70
	v_fma_f32 v70, v8, v71, -v9
	v_mul_f32_e32 v13, v11, v81
	v_mul_f32_e32 v8, v11, v80
	v_fmac_f32_e32 v63, v14, v84
	v_fmac_f32_e32 v13, v10, v80
	v_fma_f32 v71, v10, v81, -v8
	v_mul_f32_e32 v80, v21, v77
	v_mul_f32_e32 v8, v21, v76
	v_fmac_f32_e32 v80, v20, v76
	v_fma_f32 v76, v20, v77, -v8
	v_mul_f32_e32 v8, v23, v86
	v_add_f32_e32 v9, v63, v15
	v_fma_f32 v84, v14, v85, -v12
	v_fma_f32 v81, v22, v87, -v8
	s_waitcnt lgkmcnt(1)
	v_mul_f32_e32 v85, v17, v73
	v_mul_f32_e32 v8, v17, v72
	v_fma_f32 v10, -0.5, v9, v64
	v_mul_f32_e32 v77, v23, v87
	v_fmac_f32_e32 v85, v16, v72
	v_fma_f32 v72, v16, v73, -v8
	v_mul_f32_e32 v23, v19, v83
	v_mul_f32_e32 v8, v19, v82
	v_sub_f32_e32 v9, v62, v71
	v_mov_b32_e32 v12, v10
	v_fmac_f32_e32 v23, v18, v82
	v_fma_f32 v73, v18, v83, -v8
	v_mul_f32_e32 v82, v29, v79
	v_mul_f32_e32 v8, v29, v78
	v_fmac_f32_e32 v12, 0xbf737871, v9
	v_sub_f32_e32 v11, v84, v70
	v_sub_f32_e32 v14, v90, v63
	;; [unrolled: 1-line block ×3, first 2 shown]
	v_fmac_f32_e32 v10, 0x3f737871, v9
	v_fmac_f32_e32 v82, v28, v78
	v_fma_f32 v78, v28, v79, -v8
	v_mul_f32_e32 v79, v31, v69
	v_mul_f32_e32 v8, v31, v68
	v_fmac_f32_e32 v12, 0xbf167918, v11
	v_add_f32_e32 v14, v14, v16
	v_fmac_f32_e32 v10, 0x3f167918, v11
	v_fmac_f32_e32 v79, v30, v68
	v_fma_f32 v68, v30, v69, -v8
	v_mul_f32_e32 v69, v25, v75
	v_mul_f32_e32 v8, v25, v74
	v_fmac_f32_e32 v12, 0x3e9e377a, v14
	v_fmac_f32_e32 v10, 0x3e9e377a, v14
	v_add_f32_e32 v14, v90, v13
	v_fmac_f32_e32 v69, v24, v74
	v_fma_f32 v74, v24, v75, -v8
	s_waitcnt lgkmcnt(0)
	v_mul_f32_e32 v8, v27, v88
	v_fma_f32 v14, -0.5, v14, v64
	v_fma_f32 v75, v26, v89, -v8
	v_add_f32_e32 v8, v64, v90
	v_mov_b32_e32 v16, v14
	v_add_f32_e32 v8, v8, v63
	v_fmac_f32_e32 v16, 0x3f737871, v11
	v_fmac_f32_e32 v14, 0xbf737871, v11
	v_add_f32_e32 v11, v84, v70
	v_add_f32_e32 v8, v8, v15
	v_sub_f32_e32 v17, v63, v90
	v_sub_f32_e32 v18, v15, v13
	v_fma_f32 v11, -0.5, v11, v65
	v_add_f32_e32 v8, v8, v13
	v_fmac_f32_e32 v16, 0xbf167918, v9
	v_add_f32_e32 v17, v17, v18
	v_fmac_f32_e32 v14, 0x3f167918, v9
	v_sub_f32_e32 v18, v90, v13
	v_mov_b32_e32 v13, v11
	v_fmac_f32_e32 v16, 0x3e9e377a, v17
	v_fmac_f32_e32 v14, 0x3e9e377a, v17
	;; [unrolled: 1-line block ×3, first 2 shown]
	v_sub_f32_e32 v19, v63, v15
	v_sub_f32_e32 v15, v62, v84
	;; [unrolled: 1-line block ×3, first 2 shown]
	v_fmac_f32_e32 v11, 0xbf737871, v18
	v_fmac_f32_e32 v13, 0x3f167918, v19
	v_add_f32_e32 v15, v15, v17
	v_fmac_f32_e32 v11, 0xbf167918, v19
	v_fmac_f32_e32 v13, 0x3e9e377a, v15
	;; [unrolled: 1-line block ×3, first 2 shown]
	v_add_f32_e32 v15, v62, v71
	v_fma_f32 v15, -0.5, v15, v65
	v_mov_b32_e32 v17, v15
	v_fmac_f32_e32 v77, v22, v86
	v_fmac_f32_e32 v17, 0xbf737871, v19
	v_sub_f32_e32 v20, v84, v62
	v_sub_f32_e32 v21, v70, v71
	v_fmac_f32_e32 v15, 0x3f737871, v19
	v_fmac_f32_e32 v17, 0x3f167918, v18
	v_add_f32_e32 v20, v20, v21
	v_fmac_f32_e32 v15, 0xbf167918, v18
	v_add_f32_e32 v19, v77, v85
	v_fmac_f32_e32 v17, 0x3e9e377a, v20
	v_fmac_f32_e32 v15, 0x3e9e377a, v20
	v_fma_f32 v20, -0.5, v19, v66
	v_sub_f32_e32 v19, v76, v73
	v_mov_b32_e32 v22, v20
	v_fmac_f32_e32 v22, 0xbf737871, v19
	v_sub_f32_e32 v21, v81, v72
	v_sub_f32_e32 v24, v80, v77
	v_sub_f32_e32 v25, v23, v85
	v_fmac_f32_e32 v20, 0x3f737871, v19
	v_fmac_f32_e32 v22, 0xbf167918, v21
	v_add_f32_e32 v24, v24, v25
	v_fmac_f32_e32 v20, 0x3f167918, v21
	v_fmac_f32_e32 v22, 0x3e9e377a, v24
	;; [unrolled: 1-line block ×3, first 2 shown]
	v_add_f32_e32 v24, v80, v23
	v_add_f32_e32 v18, v66, v80
	v_fma_f32 v66, -0.5, v24, v66
	v_mov_b32_e32 v24, v66
	v_mul_f32_e32 v31, v27, v89
	v_add_f32_e32 v18, v18, v77
	v_fmac_f32_e32 v24, 0x3f737871, v21
	v_fmac_f32_e32 v66, 0xbf737871, v21
	v_add_f32_e32 v21, v81, v72
	v_fmac_f32_e32 v31, v26, v88
	v_add_f32_e32 v18, v18, v85
	v_sub_f32_e32 v25, v77, v80
	v_sub_f32_e32 v26, v85, v23
	v_fma_f32 v21, -0.5, v21, v67
	v_add_f32_e32 v18, v18, v23
	v_fmac_f32_e32 v24, 0xbf167918, v19
	v_add_f32_e32 v25, v25, v26
	v_fmac_f32_e32 v66, 0x3f167918, v19
	v_sub_f32_e32 v26, v80, v23
	v_mov_b32_e32 v23, v21
	v_fmac_f32_e32 v24, 0x3e9e377a, v25
	v_fmac_f32_e32 v66, 0x3e9e377a, v25
	;; [unrolled: 1-line block ×3, first 2 shown]
	v_sub_f32_e32 v27, v77, v85
	v_sub_f32_e32 v25, v76, v81
	v_sub_f32_e32 v28, v73, v72
	v_fmac_f32_e32 v21, 0xbf737871, v26
	v_fmac_f32_e32 v23, 0x3f167918, v27
	v_add_f32_e32 v25, v25, v28
	v_fmac_f32_e32 v21, 0xbf167918, v27
	v_fmac_f32_e32 v23, 0x3e9e377a, v25
	;; [unrolled: 1-line block ×3, first 2 shown]
	v_add_f32_e32 v25, v76, v73
	v_add_f32_e32 v19, v67, v76
	v_fmac_f32_e32 v67, -0.5, v25
	v_mov_b32_e32 v25, v67
	v_fmac_f32_e32 v25, 0xbf737871, v27
	v_sub_f32_e32 v28, v81, v76
	v_sub_f32_e32 v29, v72, v73
	v_fmac_f32_e32 v67, 0x3f737871, v27
	v_fmac_f32_e32 v25, 0x3f167918, v26
	v_add_f32_e32 v28, v28, v29
	v_fmac_f32_e32 v67, 0xbf167918, v26
	v_add_f32_e32 v27, v79, v69
	v_fmac_f32_e32 v25, 0x3e9e377a, v28
	v_fmac_f32_e32 v67, 0x3e9e377a, v28
	v_fma_f32 v28, -0.5, v27, v60
	v_sub_f32_e32 v27, v78, v75
	v_mov_b32_e32 v30, v28
	v_add_f32_e32 v9, v65, v62
	v_fmac_f32_e32 v30, 0xbf737871, v27
	v_sub_f32_e32 v29, v68, v74
	v_sub_f32_e32 v62, v82, v79
	;; [unrolled: 1-line block ×3, first 2 shown]
	v_fmac_f32_e32 v28, 0x3f737871, v27
	v_fmac_f32_e32 v30, 0xbf167918, v29
	v_add_f32_e32 v62, v62, v63
	v_fmac_f32_e32 v28, 0x3f167918, v29
	v_fmac_f32_e32 v30, 0x3e9e377a, v62
	;; [unrolled: 1-line block ×3, first 2 shown]
	v_add_f32_e32 v62, v82, v31
	v_add_f32_e32 v26, v60, v82
	v_fma_f32 v60, -0.5, v62, v60
	v_mov_b32_e32 v62, v60
	v_add_f32_e32 v26, v26, v79
	v_fmac_f32_e32 v62, 0x3f737871, v29
	v_fmac_f32_e32 v60, 0xbf737871, v29
	v_add_f32_e32 v29, v68, v74
	v_add_f32_e32 v26, v26, v69
	v_sub_f32_e32 v63, v79, v82
	v_sub_f32_e32 v64, v69, v31
	v_fma_f32 v29, -0.5, v29, v61
	v_add_f32_e32 v26, v26, v31
	v_fmac_f32_e32 v62, 0xbf167918, v27
	v_add_f32_e32 v63, v63, v64
	v_fmac_f32_e32 v60, 0x3f167918, v27
	v_sub_f32_e32 v64, v82, v31
	v_mov_b32_e32 v31, v29
	v_fmac_f32_e32 v62, 0x3e9e377a, v63
	v_fmac_f32_e32 v60, 0x3e9e377a, v63
	;; [unrolled: 1-line block ×3, first 2 shown]
	v_sub_f32_e32 v65, v79, v69
	v_sub_f32_e32 v63, v78, v68
	;; [unrolled: 1-line block ×3, first 2 shown]
	v_fmac_f32_e32 v29, 0xbf737871, v64
	v_fmac_f32_e32 v31, 0x3f167918, v65
	v_add_f32_e32 v63, v63, v69
	v_fmac_f32_e32 v29, 0xbf167918, v65
	v_fmac_f32_e32 v31, 0x3e9e377a, v63
	;; [unrolled: 1-line block ×3, first 2 shown]
	v_add_f32_e32 v63, v78, v75
	v_add_f32_e32 v27, v61, v78
	v_fmac_f32_e32 v61, -0.5, v63
	v_add_f32_e32 v9, v9, v84
	v_mov_b32_e32 v63, v61
	v_add_f32_e32 v9, v9, v70
	v_add_f32_e32 v19, v19, v81
	;; [unrolled: 1-line block ×3, first 2 shown]
	v_fmac_f32_e32 v63, 0xbf737871, v65
	v_sub_f32_e32 v68, v68, v78
	v_sub_f32_e32 v69, v74, v75
	v_fmac_f32_e32 v61, 0x3f737871, v65
	v_add_f32_e32 v9, v9, v71
	v_add_f32_e32 v19, v19, v72
	;; [unrolled: 1-line block ×3, first 2 shown]
	v_fmac_f32_e32 v63, 0x3f167918, v64
	v_add_f32_e32 v68, v68, v69
	v_fmac_f32_e32 v61, 0xbf167918, v64
	v_add_f32_e32 v19, v19, v73
	v_add_f32_e32 v27, v27, v75
	v_fmac_f32_e32 v63, 0x3e9e377a, v68
	v_fmac_f32_e32 v61, 0x3e9e377a, v68
	s_barrier
	ds_write2_b64 v119, v[8:9], v[12:13] offset1:17
	ds_write2_b64 v119, v[16:17], v[14:15] offset0:34 offset1:51
	ds_write_b64 v119, v[10:11] offset:544
	ds_write2_b64 v120, v[18:19], v[22:23] offset1:17
	ds_write2_b64 v120, v[24:25], v[66:67] offset0:34 offset1:51
	ds_write_b64 v120, v[20:21] offset:544
	;; [unrolled: 3-line block ×3, first 2 shown]
	s_and_saveexec_b64 s[2:3], s[0:1]
	s_cbranch_execz .LBB0_21
; %bb.20:
	v_mul_f32_e32 v8, v7, v97
	v_mul_f32_e32 v10, v1, v95
	v_fma_f32 v9, v6, v98, -v8
	v_mul_f32_e32 v8, v5, v105
	v_fma_f32 v12, v0, v96, -v10
	;; [unrolled: 2-line block ×3, first 2 shown]
	v_fma_f32 v13, v2, v94, -v10
	v_mul_f32_e32 v14, v7, v98
	v_mul_f32_e32 v15, v1, v96
	v_add_f32_e32 v1, v11, v13
	v_mul_f32_e32 v16, v5, v106
	v_fmac_f32_e32 v14, v6, v97
	v_fmac_f32_e32 v15, v0, v95
	v_fma_f32 v1, -0.5, v1, v104
	v_fmac_f32_e32 v16, v4, v105
	v_mul_f32_e32 v4, v3, v94
	v_sub_f32_e32 v0, v14, v15
	v_mov_b32_e32 v6, v1
	v_fmac_f32_e32 v4, v2, v93
	v_sub_f32_e32 v3, v11, v9
	v_sub_f32_e32 v5, v13, v12
	v_sub_f32_e32 v8, v9, v11
	v_sub_f32_e32 v10, v12, v13
	v_fmac_f32_e32 v6, 0x3f737871, v0
	v_sub_f32_e32 v2, v16, v4
	v_fmac_f32_e32 v1, 0xbf737871, v0
	v_add_f32_e32 v5, v3, v5
	v_add_f32_e32 v3, v9, v12
	v_add_f32_e32 v8, v8, v10
	v_fmac_f32_e32 v6, 0xbf167918, v2
	v_fmac_f32_e32 v1, 0x3f167918, v2
	v_fma_f32 v3, -0.5, v3, v104
	v_fmac_f32_e32 v6, 0x3e9e377a, v8
	v_fmac_f32_e32 v1, 0x3e9e377a, v8
	v_mov_b32_e32 v8, v3
	v_fmac_f32_e32 v8, 0xbf737871, v2
	v_fmac_f32_e32 v3, 0x3f737871, v2
	;; [unrolled: 1-line block ×4, first 2 shown]
	v_add_f32_e32 v0, v104, v11
	v_add_f32_e32 v0, v0, v9
	;; [unrolled: 1-line block ×4, first 2 shown]
	v_sub_f32_e32 v0, v14, v16
	v_sub_f32_e32 v2, v15, v4
	v_add_f32_e32 v2, v0, v2
	v_add_f32_e32 v0, v16, v4
	v_fma_f32 v0, -0.5, v0, v103
	v_fmac_f32_e32 v8, 0x3e9e377a, v5
	v_fmac_f32_e32 v3, 0x3e9e377a, v5
	v_sub_f32_e32 v9, v9, v12
	v_mov_b32_e32 v5, v0
	v_sub_f32_e32 v11, v11, v13
	v_fmac_f32_e32 v5, 0xbf737871, v9
	v_fmac_f32_e32 v0, 0x3f737871, v9
	;; [unrolled: 1-line block ×6, first 2 shown]
	v_sub_f32_e32 v2, v16, v14
	v_sub_f32_e32 v7, v4, v15
	v_add_f32_e32 v12, v2, v7
	v_add_f32_e32 v2, v14, v15
	v_fma_f32 v2, -0.5, v2, v103
	v_mov_b32_e32 v7, v2
	v_fmac_f32_e32 v7, 0x3f737871, v11
	v_fmac_f32_e32 v2, 0xbf737871, v11
	;; [unrolled: 1-line block ×4, first 2 shown]
	v_add_f32_e32 v9, v103, v16
	v_add_f32_e32 v9, v9, v14
	v_add_f32_e32 v9, v9, v15
	v_add_f32_e32 v9, v9, v4
	v_lshl_add_u32 v4, v118, 3, v115
	v_fmac_f32_e32 v2, 0x3e9e377a, v12
	v_add_u32_e32 v11, 0x2400, v4
	ds_write2_b64 v11, v[9:10], v[2:3] offset0:123 offset1:140
	v_add_u32_e32 v2, 0x2800, v4
	v_fmac_f32_e32 v7, 0x3e9e377a, v12
	ds_write2_b64 v2, v[0:1], v[5:6] offset0:29 offset1:46
	ds_write_b64 v4, v[7:8] offset:10744
.LBB0_21:
	s_or_b64 exec, exec, s[2:3]
	s_waitcnt lgkmcnt(0)
	s_barrier
	ds_read2_b64 v[0:3], v116 offset1:85
	v_add_u32_e32 v4, 0x400, v116
	v_add_u32_e32 v8, 0x800, v116
	;; [unrolled: 1-line block ×6, first 2 shown]
	ds_read2_b64 v[4:7], v4 offset0:127 offset1:212
	ds_read2_b64 v[8:11], v8 offset0:169 offset1:254
	;; [unrolled: 1-line block ×6, first 2 shown]
	ds_read_b64 v[28:29], v116 offset:1360
	ds_read_b64 v[30:31], v116 offset:10200
	s_waitcnt lgkmcnt(8)
	v_mul_f32_e32 v60, v53, v3
	v_fmac_f32_e32 v60, v52, v2
	v_mul_f32_e32 v2, v53, v2
	v_fma_f32 v2, v52, v3, -v2
	s_waitcnt lgkmcnt(1)
	v_mul_f32_e32 v3, v55, v29
	v_fmac_f32_e32 v3, v54, v28
	v_mul_f32_e32 v28, v55, v28
	v_fma_f32 v28, v54, v29, -v28
	v_mul_f32_e32 v29, v45, v5
	v_fmac_f32_e32 v29, v44, v4
	v_mul_f32_e32 v4, v45, v4
	v_fma_f32 v4, v44, v5, -v4
	v_mul_f32_e32 v5, v47, v7
	v_fmac_f32_e32 v5, v46, v6
	v_mul_f32_e32 v6, v47, v6
	v_fma_f32 v6, v46, v7, -v6
	v_mul_f32_e32 v7, v37, v9
	v_fmac_f32_e32 v7, v36, v8
	v_mul_f32_e32 v8, v37, v8
	v_fma_f32 v8, v36, v9, -v8
	v_mul_f32_e32 v9, v39, v11
	v_fmac_f32_e32 v9, v38, v10
	v_mul_f32_e32 v10, v39, v10
	v_fma_f32 v10, v38, v11, -v10
	v_mul_f32_e32 v11, v33, v13
	v_fmac_f32_e32 v11, v32, v12
	v_mul_f32_e32 v12, v33, v12
	v_fma_f32 v12, v32, v13, -v12
	v_mul_f32_e32 v13, v35, v15
	v_fmac_f32_e32 v13, v34, v14
	v_mul_f32_e32 v14, v35, v14
	v_fma_f32 v14, v34, v15, -v14
	v_mul_f32_e32 v15, v57, v17
	v_fmac_f32_e32 v15, v56, v16
	v_mul_f32_e32 v16, v57, v16
	v_fma_f32 v16, v56, v17, -v16
	v_mul_f32_e32 v17, v59, v19
	v_fmac_f32_e32 v17, v58, v18
	v_mul_f32_e32 v18, v59, v18
	v_fma_f32 v18, v58, v19, -v18
	v_mul_f32_e32 v19, v49, v21
	v_fmac_f32_e32 v19, v48, v20
	v_mul_f32_e32 v20, v49, v20
	v_fma_f32 v20, v48, v21, -v20
	v_mul_f32_e32 v21, v51, v23
	v_fmac_f32_e32 v21, v50, v22
	v_mul_f32_e32 v22, v51, v22
	v_fma_f32 v22, v50, v23, -v22
	v_mul_f32_e32 v23, v41, v25
	v_fmac_f32_e32 v23, v40, v24
	v_mul_f32_e32 v24, v41, v24
	v_fma_f32 v24, v40, v25, -v24
	v_mul_f32_e32 v25, v43, v27
	v_fmac_f32_e32 v25, v42, v26
	v_mul_f32_e32 v26, v43, v26
	v_fma_f32 v26, v42, v27, -v26
	s_waitcnt lgkmcnt(0)
	v_mul_f32_e32 v27, v100, v31
	v_fmac_f32_e32 v27, v99, v30
	v_mul_f32_e32 v30, v100, v30
	v_sub_f32_e32 v13, v0, v13
	v_sub_f32_e32 v14, v1, v14
	v_sub_f32_e32 v21, v5, v21
	v_sub_f32_e32 v22, v6, v22
	v_fma_f32 v30, v99, v31, -v30
	v_fma_f32 v5, v5, 2.0, -v21
	v_fma_f32 v6, v6, 2.0, -v22
	v_sub_f32_e32 v17, v3, v17
	v_sub_f32_e32 v18, v28, v18
	;; [unrolled: 1-line block ×9, first 2 shown]
	v_add_f32_e32 v22, v13, v22
	v_sub_f32_e32 v21, v14, v21
	v_fma_f32 v0, v0, 2.0, -v13
	v_fma_f32 v9, v9, 2.0, -v25
	;; [unrolled: 1-line block ×3, first 2 shown]
	v_sub_f32_e32 v16, v2, v16
	v_fma_f32 v31, v60, 2.0, -v15
	v_fma_f32 v7, v7, 2.0, -v23
	;; [unrolled: 1-line block ×4, first 2 shown]
	v_sub_f32_e32 v30, v12, v30
	v_fma_f32 v11, v11, 2.0, -v27
	v_fma_f32 v13, v13, 2.0, -v22
	v_add_f32_e32 v26, v17, v26
	v_sub_f32_e32 v25, v18, v25
	v_add_f32_e32 v24, v15, v24
	v_mov_b32_e32 v38, v22
	v_mov_b32_e32 v39, v21
	v_fma_f32 v1, v1, 2.0, -v14
	v_fma_f32 v3, v3, 2.0, -v17
	v_sub_f32_e32 v20, v4, v20
	v_fma_f32 v12, v12, 2.0, -v30
	v_fma_f32 v14, v14, 2.0, -v21
	;; [unrolled: 1-line block ×3, first 2 shown]
	v_sub_f32_e32 v7, v31, v7
	v_sub_f32_e32 v23, v16, v23
	v_fma_f32 v15, v15, 2.0, -v24
	v_sub_f32_e32 v11, v29, v11
	v_add_f32_e32 v30, v19, v30
	v_mov_b32_e32 v34, v13
	v_fmac_f32_e32 v38, 0x3f3504f3, v26
	v_fmac_f32_e32 v39, 0x3f3504f3, v25
	v_fma_f32 v28, v28, 2.0, -v18
	v_fma_f32 v2, v2, 2.0, -v16
	;; [unrolled: 1-line block ×3, first 2 shown]
	v_sub_f32_e32 v5, v0, v5
	v_sub_f32_e32 v9, v3, v9
	v_fma_f32 v18, v18, 2.0, -v25
	v_fma_f32 v31, v31, 2.0, -v7
	;; [unrolled: 1-line block ×4, first 2 shown]
	v_sub_f32_e32 v27, v20, v27
	v_fma_f32 v19, v19, 2.0, -v30
	v_fmac_f32_e32 v34, 0xbf3504f3, v17
	v_mov_b32_e32 v35, v14
	v_fmac_f32_e32 v38, 0x3f3504f3, v25
	v_fmac_f32_e32 v39, 0xbf3504f3, v26
	v_mov_b32_e32 v26, v15
	v_sub_f32_e32 v6, v1, v6
	v_fma_f32 v0, v0, 2.0, -v5
	v_fma_f32 v3, v3, 2.0, -v9
	v_sub_f32_e32 v8, v2, v8
	v_sub_f32_e32 v12, v4, v12
	v_fma_f32 v20, v20, 2.0, -v27
	v_fmac_f32_e32 v35, 0xbf3504f3, v18
	v_fmac_f32_e32 v34, 0x3f3504f3, v18
	v_fma_f32 v18, v22, 2.0, -v38
	v_sub_f32_e32 v22, v31, v29
	v_fmac_f32_e32 v26, 0xbf3504f3, v19
	v_mov_b32_e32 v29, v16
	v_sub_f32_e32 v10, v28, v10
	v_fma_f32 v2, v2, 2.0, -v8
	v_fma_f32 v4, v4, 2.0, -v12
	v_sub_f32_e32 v32, v0, v3
	v_fmac_f32_e32 v35, 0xbf3504f3, v17
	v_fma_f32 v13, v13, 2.0, -v34
	v_sub_f32_e32 v37, v6, v9
	v_fmac_f32_e32 v29, 0xbf3504f3, v20
	v_fmac_f32_e32 v26, 0x3f3504f3, v20
	v_fma_f32 v1, v1, 2.0, -v6
	v_fma_f32 v3, v0, 2.0, -v32
	v_fma_f32 v14, v14, 2.0, -v35
	v_add_f32_e32 v36, v5, v10
	v_fma_f32 v17, v6, 2.0, -v37
	v_sub_f32_e32 v25, v2, v4
	v_fma_f32 v0, v31, 2.0, -v22
	v_fmac_f32_e32 v29, 0xbf3504f3, v19
	v_fma_f32 v4, v15, 2.0, -v26
	v_add_f32_e32 v31, v7, v12
	v_mov_b32_e32 v42, v23
	v_mov_b32_e32 v6, v13
	v_fma_f32 v28, v28, 2.0, -v10
	v_fma_f32 v10, v5, 2.0, -v36
	;; [unrolled: 1-line block ×3, first 2 shown]
	v_sub_f32_e32 v40, v8, v11
	v_fma_f32 v11, v7, 2.0, -v31
	v_mov_b32_e32 v41, v24
	v_fmac_f32_e32 v42, 0x3f3504f3, v27
	v_fmac_f32_e32 v6, 0xbf6c835e, v4
	v_mov_b32_e32 v7, v14
	v_fma_f32 v21, v21, 2.0, -v39
	v_fmac_f32_e32 v41, 0x3f3504f3, v30
	v_fmac_f32_e32 v42, 0xbf3504f3, v30
	;; [unrolled: 1-line block ×4, first 2 shown]
	v_fma_f32 v12, v8, 2.0, -v40
	v_fmac_f32_e32 v41, 0x3f3504f3, v27
	v_fma_f32 v16, v23, 2.0, -v42
	v_fmac_f32_e32 v7, 0xbec3ef15, v4
	v_fma_f32 v4, v13, 2.0, -v6
	v_mov_b32_e32 v8, v10
	v_mov_b32_e32 v9, v17
	;; [unrolled: 1-line block ×3, first 2 shown]
	v_fma_f32 v15, v24, 2.0, -v41
	v_fmac_f32_e32 v8, 0xbf3504f3, v11
	v_fmac_f32_e32 v9, 0xbf3504f3, v12
	;; [unrolled: 1-line block ×3, first 2 shown]
	v_sub_f32_e32 v28, v1, v28
	v_fmac_f32_e32 v8, 0x3f3504f3, v12
	v_fmac_f32_e32 v9, 0xbf3504f3, v11
	v_mov_b32_e32 v12, v18
	v_fmac_f32_e32 v13, 0xbf6c835e, v15
	v_mov_b32_e32 v20, v34
	v_fma_f32 v11, v17, 2.0, -v9
	v_fmac_f32_e32 v12, 0xbec3ef15, v15
	v_fma_f32 v15, v21, 2.0, -v13
	v_sub_f32_e32 v17, v28, v22
	v_fmac_f32_e32 v20, 0x3ec3ef15, v26
	v_mov_b32_e32 v21, v35
	v_fma_f32 v33, v1, 2.0, -v28
	v_fma_f32 v1, v2, 2.0, -v25
	;; [unrolled: 1-line block ×3, first 2 shown]
	v_fmac_f32_e32 v21, 0x3ec3ef15, v29
	v_fmac_f32_e32 v20, 0x3f6c835e, v29
	v_mov_b32_e32 v28, v38
	v_mov_b32_e32 v29, v39
	v_sub_f32_e32 v0, v3, v0
	v_sub_f32_e32 v1, v33, v1
	v_fmac_f32_e32 v12, 0x3f6c835e, v16
	v_add_f32_e32 v16, v32, v25
	v_mov_b32_e32 v24, v36
	v_mov_b32_e32 v25, v37
	v_fmac_f32_e32 v28, 0x3f6c835e, v41
	v_fmac_f32_e32 v29, 0x3f6c835e, v42
	v_fma_f32 v2, v3, 2.0, -v0
	v_fma_f32 v3, v33, 2.0, -v1
	v_fmac_f32_e32 v24, 0x3f3504f3, v31
	v_fmac_f32_e32 v25, 0x3f3504f3, v40
	v_fmac_f32_e32 v28, 0x3ec3ef15, v42
	v_fmac_f32_e32 v29, 0xbec3ef15, v41
	v_fma_f32 v5, v14, 2.0, -v7
	v_fma_f32 v10, v10, 2.0, -v8
	v_fmac_f32_e32 v21, 0xbf6c835e, v26
	v_fmac_f32_e32 v24, 0x3f3504f3, v40
	v_fmac_f32_e32 v25, 0xbf3504f3, v31
	v_fma_f32 v30, v38, 2.0, -v28
	v_fma_f32 v31, v39, 2.0, -v29
	ds_write_b64 v117, v[2:3]
	ds_write2_b64 v117, v[4:5], v[10:11] offset0:85 offset1:170
	v_add_u32_e32 v3, 0x1000, v117
	s_movk_i32 s3, 0x1000
	s_movk_i32 s2, 0x2000
	v_fma_f32 v14, v18, 2.0, -v12
	v_fma_f32 v18, v32, 2.0, -v16
	;; [unrolled: 1-line block ×6, first 2 shown]
	v_add_u32_e32 v5, 0x400, v117
	v_add_u32_e32 v4, 0x800, v117
	ds_write2_b64 v3, v[30:31], v[0:1] offset0:83 offset1:168
	v_add_u32_e32 v2, 0x1400, v117
	v_add_u32_e32 v1, 0x1800, v117
	;; [unrolled: 1-line block ×3, first 2 shown]
	ds_write2_b64 v5, v[14:15], v[18:19] offset0:127 offset1:212
	ds_write2_b64 v4, v[22:23], v[26:27] offset0:169 offset1:254
	;; [unrolled: 1-line block ×5, first 2 shown]
	ds_write_b64 v117, v[28:29] offset:10200
	s_waitcnt lgkmcnt(0)
	s_barrier
	s_and_b64 exec, exec, vcc
	s_cbranch_execz .LBB0_23
; %bb.22:
	global_load_dwordx2 v[6:7], v114, s[12:13]
	ds_read_b64 v[10:11], v117
	v_mad_u64_u32 v[8:9], s[0:1], s6, v92, 0
	v_mad_u64_u32 v[12:13], s[0:1], s4, v113, 0
	s_waitcnt lgkmcnt(0)
	v_mad_u64_u32 v[14:15], s[6:7], s7, v92, v[9:10]
	s_mov_b32 s0, 0x18181818
	s_mov_b32 s1, 0x3f481818
	v_mad_u64_u32 v[15:16], s[6:7], s5, v113, v[13:14]
	v_mov_b32_e32 v17, s15
	s_mul_i32 s7, s5, 0x280
	v_mov_b32_e32 v13, v15
	v_lshlrev_b64 v[12:13], 3, v[12:13]
	s_mul_hi_u32 s8, s4, 0x280
	s_mul_i32 s6, s4, 0x280
	s_add_i32 s7, s8, s7
	v_mov_b32_e32 v19, s7
	s_waitcnt vmcnt(0)
	v_mul_f32_e32 v9, v11, v7
	v_mul_f32_e32 v7, v10, v7
	v_fmac_f32_e32 v9, v10, v6
	v_fma_f32 v10, v6, v11, -v7
	v_cvt_f64_f32_e32 v[6:7], v9
	v_cvt_f64_f32_e32 v[10:11], v10
	v_mov_b32_e32 v9, v14
	v_lshlrev_b64 v[8:9], 3, v[8:9]
	v_mul_f64 v[6:7], v[6:7], s[0:1]
	v_mul_f64 v[10:11], v[10:11], s[0:1]
	v_add_co_u32_e32 v15, vcc, s14, v8
	v_addc_co_u32_e32 v16, vcc, v17, v9, vcc
	v_cvt_f32_f64_e32 v6, v[6:7]
	v_cvt_f32_f64_e32 v7, v[10:11]
	v_add_co_u32_e32 v10, vcc, v15, v12
	v_addc_co_u32_e32 v11, vcc, v16, v13, vcc
	global_store_dwordx2 v[10:11], v[6:7], off
	global_load_dwordx2 v[12:13], v114, s[12:13] offset:640
	ds_read2_b64 v[6:9], v117 offset0:80 offset1:160
	v_add_co_u32_e32 v10, vcc, s6, v10
	s_waitcnt vmcnt(0) lgkmcnt(0)
	v_mul_f32_e32 v14, v7, v13
	v_mul_f32_e32 v13, v6, v13
	v_fmac_f32_e32 v14, v6, v12
	v_fma_f32 v12, v12, v7, -v13
	v_cvt_f64_f32_e32 v[6:7], v14
	v_cvt_f64_f32_e32 v[12:13], v12
	v_mov_b32_e32 v14, s7
	v_addc_co_u32_e32 v11, vcc, v11, v14, vcc
	v_mul_f64 v[6:7], v[6:7], s[0:1]
	v_mul_f64 v[12:13], v[12:13], s[0:1]
	v_or_b32_e32 v14, 0x280, v113
	v_cvt_f32_f64_e32 v6, v[6:7]
	v_cvt_f32_f64_e32 v7, v[12:13]
	global_store_dwordx2 v[10:11], v[6:7], off
	global_load_dwordx2 v[6:7], v114, s[12:13] offset:1280
	s_waitcnt vmcnt(0)
	v_mul_f32_e32 v12, v9, v7
	v_mul_f32_e32 v7, v8, v7
	v_fmac_f32_e32 v12, v8, v6
	v_fma_f32 v8, v6, v9, -v7
	v_cvt_f64_f32_e32 v[6:7], v12
	v_cvt_f64_f32_e32 v[8:9], v8
	v_mov_b32_e32 v12, s7
	v_mul_f64 v[6:7], v[6:7], s[0:1]
	v_mul_f64 v[8:9], v[8:9], s[0:1]
	v_cvt_f32_f64_e32 v6, v[6:7]
	v_cvt_f32_f64_e32 v7, v[8:9]
	v_add_co_u32_e32 v9, vcc, s6, v10
	v_addc_co_u32_e32 v10, vcc, v11, v12, vcc
	global_store_dwordx2 v[9:10], v[6:7], off
	global_load_dwordx2 v[11:12], v114, s[12:13] offset:1920
	ds_read2_b64 v[5:8], v5 offset0:112 offset1:192
	v_add_co_u32_e32 v9, vcc, s6, v9
	s_waitcnt vmcnt(0) lgkmcnt(0)
	v_mul_f32_e32 v13, v6, v12
	v_mul_f32_e32 v12, v5, v12
	v_fmac_f32_e32 v13, v5, v11
	v_fma_f32 v11, v11, v6, -v12
	v_cvt_f64_f32_e32 v[5:6], v13
	v_cvt_f64_f32_e32 v[11:12], v11
	v_mov_b32_e32 v13, s7
	v_addc_co_u32_e32 v10, vcc, v10, v13, vcc
	v_mul_f64 v[5:6], v[5:6], s[0:1]
	v_mul_f64 v[11:12], v[11:12], s[0:1]
	v_cvt_f32_f64_e32 v5, v[5:6]
	v_cvt_f32_f64_e32 v6, v[11:12]
	global_store_dwordx2 v[9:10], v[5:6], off
	global_load_dwordx2 v[5:6], v114, s[12:13] offset:2560
	s_waitcnt vmcnt(0)
	v_mul_f32_e32 v11, v8, v6
	v_mul_f32_e32 v6, v7, v6
	v_fmac_f32_e32 v11, v7, v5
	v_fma_f32 v7, v5, v8, -v6
	v_cvt_f64_f32_e32 v[5:6], v11
	v_cvt_f64_f32_e32 v[7:8], v7
	v_mov_b32_e32 v11, s7
	v_mul_f64 v[5:6], v[5:6], s[0:1]
	v_mul_f64 v[7:8], v[7:8], s[0:1]
	v_cvt_f32_f64_e32 v5, v[5:6]
	v_cvt_f32_f64_e32 v6, v[7:8]
	v_add_co_u32_e32 v8, vcc, s6, v9
	v_addc_co_u32_e32 v9, vcc, v10, v11, vcc
	global_store_dwordx2 v[8:9], v[5:6], off
	global_load_dwordx2 v[10:11], v114, s[12:13] offset:3200
	ds_read2_b64 v[4:7], v4 offset0:144 offset1:224
	v_add_co_u32_e32 v8, vcc, s6, v8
	s_waitcnt vmcnt(0) lgkmcnt(0)
	v_mul_f32_e32 v12, v5, v11
	v_mul_f32_e32 v11, v4, v11
	v_fmac_f32_e32 v12, v4, v10
	v_fma_f32 v10, v10, v5, -v11
	v_cvt_f64_f32_e32 v[4:5], v12
	v_cvt_f64_f32_e32 v[10:11], v10
	v_mov_b32_e32 v12, s7
	v_addc_co_u32_e32 v9, vcc, v9, v12, vcc
	v_mul_f64 v[4:5], v[4:5], s[0:1]
	v_mul_f64 v[10:11], v[10:11], s[0:1]
	v_add_co_u32_e32 v17, vcc, s12, v114
	v_cvt_f32_f64_e32 v4, v[4:5]
	v_cvt_f32_f64_e32 v5, v[10:11]
	global_store_dwordx2 v[8:9], v[4:5], off
	global_load_dwordx2 v[4:5], v114, s[12:13] offset:3840
	s_waitcnt vmcnt(0)
	v_mul_f32_e32 v10, v7, v5
	v_mul_f32_e32 v5, v6, v5
	v_fmac_f32_e32 v10, v6, v4
	v_fma_f32 v6, v4, v7, -v5
	v_cvt_f64_f32_e32 v[4:5], v10
	v_cvt_f64_f32_e32 v[6:7], v6
	v_mov_b32_e32 v10, s13
	v_addc_co_u32_e32 v18, vcc, 0, v10, vcc
	v_mul_f64 v[4:5], v[4:5], s[0:1]
	v_mul_f64 v[6:7], v[6:7], s[0:1]
	v_add_co_u32_e32 v10, vcc, s3, v17
	v_addc_co_u32_e32 v11, vcc, 0, v18, vcc
	s_mul_i32 s3, s5, 0x500
	v_cvt_f32_f64_e32 v4, v[4:5]
	v_cvt_f32_f64_e32 v5, v[6:7]
	v_add_co_u32_e32 v7, vcc, s6, v8
	v_addc_co_u32_e32 v8, vcc, v9, v12, vcc
	global_store_dwordx2 v[7:8], v[4:5], off
	global_load_dwordx2 v[12:13], v[10:11], off offset:384
	ds_read2_b64 v[3:6], v3 offset0:48 offset1:128
	v_add_co_u32_e32 v7, vcc, s6, v7
	v_addc_co_u32_e32 v8, vcc, v8, v19, vcc
	s_waitcnt vmcnt(0) lgkmcnt(0)
	v_mul_f32_e32 v9, v4, v13
	v_mul_f32_e32 v13, v3, v13
	v_fmac_f32_e32 v9, v3, v12
	v_fma_f32 v12, v12, v4, -v13
	v_cvt_f64_f32_e32 v[3:4], v9
	v_cvt_f64_f32_e32 v[12:13], v12
	v_lshlrev_b32_e32 v9, 3, v14
	v_mul_f64 v[3:4], v[3:4], s[0:1]
	v_mul_f64 v[12:13], v[12:13], s[0:1]
	v_cvt_f32_f64_e32 v3, v[3:4]
	v_cvt_f32_f64_e32 v4, v[12:13]
	v_mad_u64_u32 v[12:13], s[8:9], s4, v14, 0
	global_store_dwordx2 v[7:8], v[3:4], off
	global_load_dwordx2 v[3:4], v9, s[12:13]
	s_waitcnt vmcnt(0)
	v_mul_f32_e32 v9, v6, v4
	v_mul_f32_e32 v4, v5, v4
	v_fmac_f32_e32 v9, v5, v3
	v_fma_f32 v5, v3, v6, -v4
	v_cvt_f64_f32_e32 v[3:4], v9
	v_cvt_f64_f32_e32 v[5:6], v5
	v_mov_b32_e32 v9, v13
	v_mad_u64_u32 v[13:14], s[8:9], s5, v14, v[9:10]
	v_mul_f64 v[3:4], v[3:4], s[0:1]
	v_mul_f64 v[5:6], v[5:6], s[0:1]
	v_lshlrev_b64 v[12:13], 3, v[12:13]
	v_cvt_f32_f64_e32 v3, v[3:4]
	v_cvt_f32_f64_e32 v4, v[5:6]
	v_add_co_u32_e32 v5, vcc, v15, v12
	v_addc_co_u32_e32 v6, vcc, v16, v13, vcc
	global_store_dwordx2 v[5:6], v[3:4], off
	global_load_dwordx2 v[12:13], v[10:11], off offset:1664
	ds_read2_b64 v[2:5], v2 offset0:80 offset1:160
	s_waitcnt vmcnt(0) lgkmcnt(0)
	v_mul_f32_e32 v6, v3, v13
	v_mul_f32_e32 v9, v2, v13
	v_fmac_f32_e32 v6, v2, v12
	v_fma_f32 v9, v12, v3, -v9
	v_cvt_f64_f32_e32 v[2:3], v6
	v_cvt_f64_f32_e32 v[12:13], v9
	v_mov_b32_e32 v6, 0x500
	v_mad_u64_u32 v[6:7], s[8:9], s4, v6, v[7:8]
	v_mul_f64 v[2:3], v[2:3], s[0:1]
	v_mul_f64 v[12:13], v[12:13], s[0:1]
	v_add_u32_e32 v7, s3, v7
	v_cvt_f32_f64_e32 v2, v[2:3]
	v_cvt_f32_f64_e32 v3, v[12:13]
	global_store_dwordx2 v[6:7], v[2:3], off
	global_load_dwordx2 v[2:3], v[10:11], off offset:2304
	s_waitcnt vmcnt(0)
	v_mul_f32_e32 v8, v5, v3
	v_mul_f32_e32 v3, v4, v3
	v_fmac_f32_e32 v8, v4, v2
	v_fma_f32 v4, v2, v5, -v3
	v_cvt_f64_f32_e32 v[2:3], v8
	v_cvt_f64_f32_e32 v[4:5], v4
	v_mov_b32_e32 v8, s7
	v_mul_f64 v[2:3], v[2:3], s[0:1]
	v_mul_f64 v[4:5], v[4:5], s[0:1]
	v_cvt_f32_f64_e32 v2, v[2:3]
	v_cvt_f32_f64_e32 v3, v[4:5]
	v_add_co_u32_e32 v5, vcc, s6, v6
	v_addc_co_u32_e32 v6, vcc, v7, v8, vcc
	global_store_dwordx2 v[5:6], v[2:3], off
	global_load_dwordx2 v[7:8], v[10:11], off offset:2944
	ds_read2_b64 v[1:4], v1 offset0:112 offset1:192
	v_add_co_u32_e32 v5, vcc, s6, v5
	s_waitcnt vmcnt(0) lgkmcnt(0)
	v_mul_f32_e32 v9, v2, v8
	v_mul_f32_e32 v8, v1, v8
	v_fmac_f32_e32 v9, v1, v7
	v_fma_f32 v7, v7, v2, -v8
	v_cvt_f64_f32_e32 v[1:2], v9
	v_cvt_f64_f32_e32 v[7:8], v7
	v_mov_b32_e32 v9, s7
	v_addc_co_u32_e32 v6, vcc, v6, v9, vcc
	v_mul_f64 v[1:2], v[1:2], s[0:1]
	v_mul_f64 v[7:8], v[7:8], s[0:1]
	v_cvt_f32_f64_e32 v1, v[1:2]
	v_cvt_f32_f64_e32 v2, v[7:8]
	global_store_dwordx2 v[5:6], v[1:2], off
	global_load_dwordx2 v[1:2], v[10:11], off offset:3584
	s_waitcnt vmcnt(0)
	v_mul_f32_e32 v7, v4, v2
	v_mul_f32_e32 v2, v3, v2
	v_fmac_f32_e32 v7, v3, v1
	v_fma_f32 v3, v1, v4, -v2
	v_cvt_f64_f32_e32 v[1:2], v7
	v_cvt_f64_f32_e32 v[3:4], v3
	v_add_co_u32_e32 v7, vcc, s2, v17
	v_mul_f64 v[1:2], v[1:2], s[0:1]
	v_mul_f64 v[3:4], v[3:4], s[0:1]
	v_addc_co_u32_e32 v8, vcc, 0, v18, vcc
	v_cvt_f32_f64_e32 v1, v[1:2]
	v_cvt_f32_f64_e32 v2, v[3:4]
	v_add_co_u32_e32 v4, vcc, s6, v5
	v_addc_co_u32_e32 v5, vcc, v6, v9, vcc
	global_store_dwordx2 v[4:5], v[1:2], off
	global_load_dwordx2 v[9:10], v[7:8], off offset:128
	ds_read2_b64 v[0:3], v0 offset0:16 offset1:96
	v_add_co_u32_e32 v4, vcc, s6, v4
	s_waitcnt vmcnt(0) lgkmcnt(0)
	v_mul_f32_e32 v6, v1, v10
	v_mul_f32_e32 v10, v0, v10
	v_fmac_f32_e32 v6, v0, v9
	v_fma_f32 v9, v9, v1, -v10
	v_cvt_f64_f32_e32 v[0:1], v6
	v_cvt_f64_f32_e32 v[9:10], v9
	v_mov_b32_e32 v6, s7
	v_addc_co_u32_e32 v5, vcc, v5, v6, vcc
	v_mul_f64 v[0:1], v[0:1], s[0:1]
	v_mul_f64 v[9:10], v[9:10], s[0:1]
	v_cvt_f32_f64_e32 v0, v[0:1]
	v_cvt_f32_f64_e32 v1, v[9:10]
	v_mov_b32_e32 v10, s7
	global_store_dwordx2 v[4:5], v[0:1], off
	global_load_dwordx2 v[0:1], v[7:8], off offset:768
	v_add_co_u32_e32 v4, vcc, s6, v4
	s_waitcnt vmcnt(0)
	v_mul_f32_e32 v6, v3, v1
	v_mul_f32_e32 v1, v2, v1
	v_fmac_f32_e32 v6, v2, v0
	v_fma_f32 v2, v0, v3, -v1
	v_cvt_f64_f32_e32 v[0:1], v6
	v_cvt_f64_f32_e32 v[2:3], v2
	v_mov_b32_e32 v6, s7
	v_addc_co_u32_e32 v5, vcc, v5, v6, vcc
	v_mul_f64 v[0:1], v[0:1], s[0:1]
	v_mul_f64 v[2:3], v[2:3], s[0:1]
	v_cvt_f32_f64_e32 v0, v[0:1]
	v_cvt_f32_f64_e32 v1, v[2:3]
	global_store_dwordx2 v[4:5], v[0:1], off
	global_load_dwordx2 v[6:7], v[7:8], off offset:1408
	v_add_u32_e32 v0, 0x2400, v117
	ds_read2_b64 v[0:3], v0 offset0:48 offset1:128
	v_add_co_u32_e32 v4, vcc, s6, v4
	v_addc_co_u32_e32 v5, vcc, v5, v10, vcc
	s_waitcnt vmcnt(0) lgkmcnt(0)
	v_mul_f32_e32 v8, v1, v7
	v_mul_f32_e32 v7, v0, v7
	v_fmac_f32_e32 v8, v0, v6
	v_fma_f32 v6, v6, v1, -v7
	v_cvt_f64_f32_e32 v[0:1], v8
	v_cvt_f64_f32_e32 v[6:7], v6
	v_or_b32_e32 v8, 0x500, v113
	v_lshlrev_b32_e32 v9, 3, v8
	v_mul_f64 v[0:1], v[0:1], s[0:1]
	v_mul_f64 v[6:7], v[6:7], s[0:1]
	v_cvt_f32_f64_e32 v0, v[0:1]
	v_cvt_f32_f64_e32 v1, v[6:7]
	global_store_dwordx2 v[4:5], v[0:1], off
	global_load_dwordx2 v[0:1], v9, s[12:13]
	v_mad_u64_u32 v[4:5], s[2:3], s4, v8, 0
	s_waitcnt vmcnt(0)
	v_mul_f32_e32 v6, v3, v1
	v_mul_f32_e32 v1, v2, v1
	v_fmac_f32_e32 v6, v2, v0
	v_fma_f32 v2, v0, v3, -v1
	v_cvt_f64_f32_e32 v[0:1], v6
	v_cvt_f64_f32_e32 v[2:3], v2
	v_mul_f64 v[0:1], v[0:1], s[0:1]
	v_mul_f64 v[2:3], v[2:3], s[0:1]
	v_mad_u64_u32 v[5:6], s[0:1], s5, v8, v[5:6]
	v_lshlrev_b64 v[4:5], 3, v[4:5]
	v_cvt_f32_f64_e32 v0, v[0:1]
	v_cvt_f32_f64_e32 v1, v[2:3]
	v_add_co_u32_e32 v2, vcc, v15, v4
	v_addc_co_u32_e32 v3, vcc, v16, v5, vcc
	global_store_dwordx2 v[2:3], v[0:1], off
.LBB0_23:
	s_endpgm
	.section	.rodata,"a",@progbits
	.p2align	6, 0x0
	.amdhsa_kernel bluestein_single_fwd_len1360_dim1_sp_op_CI_CI
		.amdhsa_group_segment_fixed_size 32640
		.amdhsa_private_segment_fixed_size 196
		.amdhsa_kernarg_size 104
		.amdhsa_user_sgpr_count 6
		.amdhsa_user_sgpr_private_segment_buffer 1
		.amdhsa_user_sgpr_dispatch_ptr 0
		.amdhsa_user_sgpr_queue_ptr 0
		.amdhsa_user_sgpr_kernarg_segment_ptr 1
		.amdhsa_user_sgpr_dispatch_id 0
		.amdhsa_user_sgpr_flat_scratch_init 0
		.amdhsa_user_sgpr_private_segment_size 0
		.amdhsa_uses_dynamic_stack 0
		.amdhsa_system_sgpr_private_segment_wavefront_offset 1
		.amdhsa_system_sgpr_workgroup_id_x 1
		.amdhsa_system_sgpr_workgroup_id_y 0
		.amdhsa_system_sgpr_workgroup_id_z 0
		.amdhsa_system_sgpr_workgroup_info 0
		.amdhsa_system_vgpr_workitem_id 0
		.amdhsa_next_free_vgpr 256
		.amdhsa_next_free_sgpr 24
		.amdhsa_reserve_vcc 1
		.amdhsa_reserve_flat_scratch 0
		.amdhsa_float_round_mode_32 0
		.amdhsa_float_round_mode_16_64 0
		.amdhsa_float_denorm_mode_32 3
		.amdhsa_float_denorm_mode_16_64 3
		.amdhsa_dx10_clamp 1
		.amdhsa_ieee_mode 1
		.amdhsa_fp16_overflow 0
		.amdhsa_exception_fp_ieee_invalid_op 0
		.amdhsa_exception_fp_denorm_src 0
		.amdhsa_exception_fp_ieee_div_zero 0
		.amdhsa_exception_fp_ieee_overflow 0
		.amdhsa_exception_fp_ieee_underflow 0
		.amdhsa_exception_fp_ieee_inexact 0
		.amdhsa_exception_int_div_zero 0
	.end_amdhsa_kernel
	.text
.Lfunc_end0:
	.size	bluestein_single_fwd_len1360_dim1_sp_op_CI_CI, .Lfunc_end0-bluestein_single_fwd_len1360_dim1_sp_op_CI_CI
                                        ; -- End function
	.section	.AMDGPU.csdata,"",@progbits
; Kernel info:
; codeLenInByte = 23168
; NumSgprs: 28
; NumVgprs: 256
; ScratchSize: 196
; MemoryBound: 0
; FloatMode: 240
; IeeeMode: 1
; LDSByteSize: 32640 bytes/workgroup (compile time only)
; SGPRBlocks: 3
; VGPRBlocks: 63
; NumSGPRsForWavesPerEU: 28
; NumVGPRsForWavesPerEU: 256
; Occupancy: 1
; WaveLimiterHint : 1
; COMPUTE_PGM_RSRC2:SCRATCH_EN: 1
; COMPUTE_PGM_RSRC2:USER_SGPR: 6
; COMPUTE_PGM_RSRC2:TRAP_HANDLER: 0
; COMPUTE_PGM_RSRC2:TGID_X_EN: 1
; COMPUTE_PGM_RSRC2:TGID_Y_EN: 0
; COMPUTE_PGM_RSRC2:TGID_Z_EN: 0
; COMPUTE_PGM_RSRC2:TIDIG_COMP_CNT: 0
	.type	__hip_cuid_7743814cc20b74e3,@object ; @__hip_cuid_7743814cc20b74e3
	.section	.bss,"aw",@nobits
	.globl	__hip_cuid_7743814cc20b74e3
__hip_cuid_7743814cc20b74e3:
	.byte	0                               ; 0x0
	.size	__hip_cuid_7743814cc20b74e3, 1

	.ident	"AMD clang version 19.0.0git (https://github.com/RadeonOpenCompute/llvm-project roc-6.4.0 25133 c7fe45cf4b819c5991fe208aaa96edf142730f1d)"
	.section	".note.GNU-stack","",@progbits
	.addrsig
	.addrsig_sym __hip_cuid_7743814cc20b74e3
	.amdgpu_metadata
---
amdhsa.kernels:
  - .args:
      - .actual_access:  read_only
        .address_space:  global
        .offset:         0
        .size:           8
        .value_kind:     global_buffer
      - .actual_access:  read_only
        .address_space:  global
        .offset:         8
        .size:           8
        .value_kind:     global_buffer
      - .actual_access:  read_only
        .address_space:  global
        .offset:         16
        .size:           8
        .value_kind:     global_buffer
      - .actual_access:  read_only
        .address_space:  global
        .offset:         24
        .size:           8
        .value_kind:     global_buffer
      - .actual_access:  read_only
        .address_space:  global
        .offset:         32
        .size:           8
        .value_kind:     global_buffer
      - .offset:         40
        .size:           8
        .value_kind:     by_value
      - .address_space:  global
        .offset:         48
        .size:           8
        .value_kind:     global_buffer
      - .address_space:  global
        .offset:         56
        .size:           8
        .value_kind:     global_buffer
      - .address_space:  global
        .offset:         64
        .size:           8
        .value_kind:     global_buffer
      - .address_space:  global
        .offset:         72
        .size:           8
        .value_kind:     global_buffer
      - .offset:         80
        .size:           4
        .value_kind:     by_value
      - .address_space:  global
        .offset:         88
        .size:           8
        .value_kind:     global_buffer
      - .address_space:  global
        .offset:         96
        .size:           8
        .value_kind:     global_buffer
    .group_segment_fixed_size: 32640
    .kernarg_segment_align: 8
    .kernarg_segment_size: 104
    .language:       OpenCL C
    .language_version:
      - 2
      - 0
    .max_flat_workgroup_size: 255
    .name:           bluestein_single_fwd_len1360_dim1_sp_op_CI_CI
    .private_segment_fixed_size: 196
    .sgpr_count:     28
    .sgpr_spill_count: 0
    .symbol:         bluestein_single_fwd_len1360_dim1_sp_op_CI_CI.kd
    .uniform_work_group_size: 1
    .uses_dynamic_stack: false
    .vgpr_count:     256
    .vgpr_spill_count: 48
    .wavefront_size: 64
amdhsa.target:   amdgcn-amd-amdhsa--gfx906
amdhsa.version:
  - 1
  - 2
...

	.end_amdgpu_metadata
